;; amdgpu-corpus repo=ROCm/rocFFT kind=compiled arch=gfx950 opt=O3
	.text
	.amdgcn_target "amdgcn-amd-amdhsa--gfx950"
	.amdhsa_code_object_version 6
	.protected	bluestein_single_back_len3375_dim1_dp_op_CI_CI ; -- Begin function bluestein_single_back_len3375_dim1_dp_op_CI_CI
	.globl	bluestein_single_back_len3375_dim1_dp_op_CI_CI
	.p2align	8
	.type	bluestein_single_back_len3375_dim1_dp_op_CI_CI,@function
bluestein_single_back_len3375_dim1_dp_op_CI_CI: ; @bluestein_single_back_len3375_dim1_dp_op_CI_CI
; %bb.0:
	s_load_dwordx4 s[12:15], s[0:1], 0x28
	v_mul_u32_u24_e32 v1, 0x124, v0
	v_add_u32_sdwa v134, s2, v1 dst_sel:DWORD dst_unused:UNUSED_PAD src0_sel:DWORD src1_sel:WORD_1
	v_mov_b32_e32 v135, 0
	s_waitcnt lgkmcnt(0)
	v_cmp_gt_u64_e32 vcc, s[12:13], v[134:135]
	s_and_saveexec_b64 s[2:3], vcc
	s_cbranch_execz .LBB0_2
; %bb.1:
	s_load_dwordx4 s[4:7], s[0:1], 0x0
	s_load_dwordx4 s[8:11], s[0:1], 0x18
	s_load_dwordx2 s[2:3], s[0:1], 0x38
	v_mov_b32_e32 v2, s14
	v_mov_b32_e32 v3, s15
	s_movk_i32 s21, 0x2000
	s_movk_i32 s22, 0x1000
	s_waitcnt lgkmcnt(0)
	v_mov_b32_e32 v4, s2
	v_mov_b32_e32 v5, s3
	s_load_dwordx4 s[0:3], s[10:11], 0x0
	v_accvgpr_write_b32 a0, v4
	v_accvgpr_write_b32 a1, v5
	s_movk_i32 s20, 0x4000
	s_mov_b32 s13, 0xbfee6f0e
	s_waitcnt lgkmcnt(0)
	v_mad_u64_u32 v[6:7], s[10:11], s2, v134, 0
	s_load_dwordx4 s[8:11], s[8:9], 0x0
	v_mov_b32_e32 v4, v7
	v_mad_u64_u32 v[4:5], s[2:3], s3, v134, v[4:5]
	v_mov_b32_e32 v7, v4
	v_accvgpr_write_b32 a2, v6
	s_waitcnt lgkmcnt(0)
	v_mad_u64_u32 v[4:5], s[2:3], s10, v134, 0
	v_accvgpr_write_b32 a3, v7
	v_mov_b32_e32 v6, v5
	v_mad_u64_u32 v[6:7], s[2:3], s11, v134, v[6:7]
	s_movk_i32 s2, 0xe1
	s_nop 0
	v_mul_lo_u16_sdwa v1, v1, s2 dst_sel:DWORD dst_unused:UNUSED_PAD src0_sel:WORD_1 src1_sel:DWORD
	v_sub_u16_e32 v80, v0, v1
	s_mov_b32 s2, 0
	v_mov_b32_e32 v81, s2
	v_mad_u64_u32 v[0:1], s[2:3], s8, v80, 0
	v_mov_b32_e32 v5, v6
	v_mov_b32_e32 v6, v1
	v_mad_u64_u32 v[6:7], s[2:3], s9, v80, v[6:7]
	v_mov_b32_e32 v1, v6
	v_lshl_add_u64 v[2:3], v[4:5], 4, v[2:3]
	v_lshl_add_u64 v[8:9], v[0:1], 4, v[2:3]
	v_lshlrev_b32_e32 v134, 4, v80
	global_load_dwordx4 v[0:3], v[8:9], off
	global_load_dwordx4 v[10:13], v134, s[4:5]
	s_mov_b64 s[2:3], 0x2a3
	v_lshl_add_u64 v[68:69], s[4:5], 0, v[134:135]
	v_lshl_add_u64 v[70:71], v[80:81], 0, s[2:3]
	s_movk_i32 s14, 0xcd
	s_movk_i32 s16, 0xff83
	s_mov_b32 s17, -1
	s_mov_b32 s15, 0xbfebb67a
	s_movk_i32 s18, 0x7c
	s_movk_i32 s23, 0x177
	;; [unrolled: 1-line block ×3, first 2 shown]
	s_mov_b32 s25, -1
	s_waitcnt vmcnt(0)
	v_accvgpr_write_b32 a8, v10
	v_mul_f64 v[4:5], v[2:3], v[12:13]
	v_fmac_f64_e32 v[4:5], v[0:1], v[10:11]
	v_mul_f64 v[0:1], v[0:1], v[12:13]
	v_fma_f64 v[6:7], v[2:3], v[10:11], -v[0:1]
	v_mov_b32_e32 v0, 0x2a30
	v_mad_u64_u32 v[8:9], s[2:3], s8, v0, v[8:9]
	ds_write_b128 v134, v[4:7]
	s_mul_i32 s2, s9, 0x2a30
	v_add_co_u32_e32 v4, vcc, s21, v68
	v_add_u32_e32 v9, s2, v9
	s_nop 0
	v_addc_co_u32_e32 v5, vcc, 0, v69, vcc
	global_load_dwordx4 v[0:3], v[8:9], off
	global_load_dwordx4 v[14:17], v[4:5], off offset:2608
	v_accvgpr_write_b32 a9, v11
	v_accvgpr_write_b32 a10, v12
	;; [unrolled: 1-line block ×3, first 2 shown]
	v_mov_b32_e32 v12, 0x2a30
	s_movk_i32 s3, 0x5000
	v_mad_u64_u32 v[8:9], s[10:11], s8, v12, v[8:9]
	v_add_u32_e32 v9, s2, v9
	v_mad_u64_u32 v[10:11], s[10:11], s8, v12, v[8:9]
	v_add_u32_e32 v11, s2, v11
	v_mov_b32_e32 v13, 0xffff6550
	s_waitcnt vmcnt(0)
	v_accvgpr_write_b32 a12, v14
	v_mul_f64 v[4:5], v[2:3], v[16:17]
	v_fmac_f64_e32 v[4:5], v[0:1], v[14:15]
	v_mul_f64 v[0:1], v[0:1], v[16:17]
	v_fma_f64 v[6:7], v[2:3], v[14:15], -v[0:1]
	ds_write_b128 v134, v[4:7] offset:10800
	v_add_co_u32_e32 v4, vcc, s3, v68
	v_accvgpr_write_b32 a13, v15
	s_nop 0
	v_addc_co_u32_e32 v5, vcc, 0, v69, vcc
	v_accvgpr_write_b32 a14, v16
	v_accvgpr_write_b32 a15, v17
	global_load_dwordx4 v[0:3], v[8:9], off
	global_load_dwordx4 v[14:17], v[4:5], off offset:1120
	s_movk_i32 s3, 0x7000
	s_waitcnt vmcnt(0)
	v_mul_f64 v[4:5], v[2:3], v[16:17]
	v_fmac_f64_e32 v[4:5], v[0:1], v[14:15]
	v_mul_f64 v[0:1], v[0:1], v[16:17]
	v_fma_f64 v[6:7], v[2:3], v[14:15], -v[0:1]
	v_add_co_u32_e32 v0, vcc, s3, v68
	v_accvgpr_write_b32 a19, v17
	s_nop 0
	v_addc_co_u32_e32 v1, vcc, 0, v69, vcc
	v_accvgpr_write_b32 a18, v16
	v_accvgpr_write_b32 a17, v15
	;; [unrolled: 1-line block ×3, first 2 shown]
	ds_write_b128 v134, v[4:7] offset:21600
	global_load_dwordx4 v[2:5], v[10:11], off
	global_load_dwordx4 v[14:17], v[0:1], off offset:3728
	s_mov_b32 s3, 0xa000
	v_mad_u64_u32 v[10:11], s[10:11], s8, v12, v[10:11]
	v_add_u32_e32 v11, s2, v11
	s_mov_b64 s[10:11], 0xe1
	v_lshl_add_u64 v[74:75], v[80:81], 0, s[10:11]
	s_waitcnt vmcnt(0)
	v_mul_f64 v[6:7], v[4:5], v[16:17]
	v_fmac_f64_e32 v[6:7], v[2:3], v[14:15]
	v_mul_f64 v[2:3], v[2:3], v[16:17]
	v_fma_f64 v[8:9], v[4:5], v[14:15], -v[2:3]
	ds_write_b128 v134, v[6:9] offset:32400
	v_add_co_u32_e32 v6, vcc, s3, v68
	v_accvgpr_write_b32 a23, v17
	s_nop 0
	v_addc_co_u32_e32 v7, vcc, 0, v69, vcc
	v_accvgpr_write_b32 a22, v16
	v_accvgpr_write_b32 a21, v15
	;; [unrolled: 1-line block ×3, first 2 shown]
	global_load_dwordx4 v[2:5], v[10:11], off
	global_load_dwordx4 v[14:17], v[6:7], off offset:2240
	s_mul_i32 s3, s9, 0xffff6550
	s_sub_i32 s3, s3, s8
	s_waitcnt vmcnt(0)
	v_mul_f64 v[6:7], v[4:5], v[16:17]
	v_fmac_f64_e32 v[6:7], v[2:3], v[14:15]
	v_mul_f64 v[2:3], v[2:3], v[16:17]
	v_fma_f64 v[8:9], v[4:5], v[14:15], -v[2:3]
	v_mov_b32_e32 v2, 0xffff6550
	v_mad_u64_u32 v[10:11], s[10:11], s8, v2, v[10:11]
	v_accvgpr_write_b32 a27, v17
	ds_write_b128 v134, v[6:9] offset:43200
	v_add_u32_e32 v11, s3, v11
	v_accvgpr_write_b32 a26, v16
	v_accvgpr_write_b32 a25, v15
	;; [unrolled: 1-line block ×3, first 2 shown]
	global_load_dwordx4 v[2:5], v[10:11], off
	global_load_dwordx4 v[14:17], v134, s[4:5] offset:3600
	s_mov_b64 s[4:5], 0x384
	v_lshl_add_u64 v[72:73], v[80:81], 0, s[4:5]
	v_mad_u64_u32 v[10:11], s[4:5], s8, v12, v[10:11]
	s_movk_i32 s4, 0x3000
	v_add_u32_e32 v11, s2, v11
	s_mov_b32 s11, 0xbfe2cf23
	s_waitcnt vmcnt(0)
	v_mul_f64 v[6:7], v[4:5], v[16:17]
	v_fmac_f64_e32 v[6:7], v[2:3], v[14:15]
	v_mul_f64 v[2:3], v[2:3], v[16:17]
	v_fma_f64 v[8:9], v[4:5], v[14:15], -v[2:3]
	ds_write_b128 v134, v[6:9] offset:3600
	v_add_co_u32_e32 v6, vcc, s4, v68
	v_accvgpr_write_b32 a31, v17
	s_nop 0
	v_addc_co_u32_e32 v7, vcc, 0, v69, vcc
	v_accvgpr_write_b32 a30, v16
	v_accvgpr_write_b32 a29, v15
	;; [unrolled: 1-line block ×3, first 2 shown]
	global_load_dwordx4 v[2:5], v[10:11], off
	global_load_dwordx4 v[14:17], v[6:7], off offset:2112
	v_mad_u64_u32 v[10:11], s[4:5], s8, v12, v[10:11]
	s_movk_i32 s4, 0x6000
	v_add_u32_e32 v11, s2, v11
	s_waitcnt vmcnt(0)
	v_mul_f64 v[6:7], v[4:5], v[16:17]
	v_fmac_f64_e32 v[6:7], v[2:3], v[14:15]
	v_mul_f64 v[2:3], v[2:3], v[16:17]
	v_fma_f64 v[8:9], v[4:5], v[14:15], -v[2:3]
	ds_write_b128 v134, v[6:9] offset:14400
	v_add_co_u32_e32 v6, vcc, s4, v68
	v_accvgpr_write_b32 a35, v17
	s_nop 0
	v_addc_co_u32_e32 v7, vcc, 0, v69, vcc
	v_accvgpr_write_b32 a34, v16
	v_accvgpr_write_b32 a33, v15
	;; [unrolled: 1-line block ×3, first 2 shown]
	global_load_dwordx4 v[2:5], v[10:11], off
	global_load_dwordx4 v[14:17], v[6:7], off offset:624
	v_mad_u64_u32 v[10:11], s[4:5], s8, v12, v[10:11]
	s_mov_b32 s4, 0x8000
	v_add_u32_e32 v11, s2, v11
	s_waitcnt vmcnt(0)
	v_mul_f64 v[6:7], v[4:5], v[16:17]
	v_fmac_f64_e32 v[6:7], v[2:3], v[14:15]
	v_mul_f64 v[2:3], v[2:3], v[16:17]
	v_fma_f64 v[8:9], v[4:5], v[14:15], -v[2:3]
	ds_write_b128 v134, v[6:9] offset:25200
	v_add_co_u32_e32 v6, vcc, s4, v68
	v_accvgpr_write_b32 a39, v17
	s_nop 0
	v_addc_co_u32_e32 v7, vcc, 0, v69, vcc
	v_accvgpr_write_b32 a38, v16
	v_accvgpr_write_b32 a37, v15
	;; [unrolled: 1-line block ×3, first 2 shown]
	global_load_dwordx4 v[2:5], v[10:11], off
	global_load_dwordx4 v[14:17], v[6:7], off offset:3232
	v_mad_u64_u32 v[10:11], s[4:5], s8, v12, v[10:11]
	s_mov_b32 s4, 0xb000
	v_add_u32_e32 v11, s2, v11
	s_waitcnt vmcnt(0)
	v_mul_f64 v[6:7], v[4:5], v[16:17]
	v_fmac_f64_e32 v[6:7], v[2:3], v[14:15]
	v_mul_f64 v[2:3], v[2:3], v[16:17]
	v_fma_f64 v[8:9], v[4:5], v[14:15], -v[2:3]
	ds_write_b128 v134, v[6:9] offset:36000
	v_add_co_u32_e32 v6, vcc, s4, v68
	v_accvgpr_write_b32 a43, v17
	s_nop 0
	v_addc_co_u32_e32 v7, vcc, 0, v69, vcc
	v_accvgpr_write_b32 a42, v16
	v_accvgpr_write_b32 a41, v15
	;; [unrolled: 1-line block ×3, first 2 shown]
	global_load_dwordx4 v[2:5], v[10:11], off
	global_load_dwordx4 v[14:17], v[6:7], off offset:1744
	s_mov_b64 s[4:5], 0x1c2
	v_lshl_add_u64 v[92:93], v[80:81], 0, s[4:5]
	v_mad_u64_u32 v[10:11], s[4:5], s8, v13, v[10:11]
	v_add_u32_e32 v11, s3, v11
	s_mov_b32 s3, 0x9000
	s_waitcnt vmcnt(0)
	v_mul_f64 v[6:7], v[4:5], v[16:17]
	v_fmac_f64_e32 v[6:7], v[2:3], v[14:15]
	v_mul_f64 v[2:3], v[2:3], v[16:17]
	v_fma_f64 v[8:9], v[4:5], v[14:15], -v[2:3]
	ds_write_b128 v134, v[6:9] offset:46800
	v_add_co_u32_e32 v6, vcc, s22, v68
	v_accvgpr_write_b32 a47, v17
	s_nop 0
	v_addc_co_u32_e32 v7, vcc, 0, v69, vcc
	v_accvgpr_write_b32 a46, v16
	v_accvgpr_write_b32 a45, v15
	;; [unrolled: 1-line block ×3, first 2 shown]
	global_load_dwordx4 v[2:5], v[10:11], off
	global_load_dwordx4 v[14:17], v[6:7], off offset:3104
	v_mad_u64_u32 v[10:11], s[4:5], s8, v12, v[10:11]
	v_add_u32_e32 v11, s2, v11
	s_waitcnt vmcnt(0)
	v_mul_f64 v[6:7], v[4:5], v[16:17]
	v_fmac_f64_e32 v[6:7], v[2:3], v[14:15]
	v_mul_f64 v[2:3], v[2:3], v[16:17]
	v_fma_f64 v[8:9], v[4:5], v[14:15], -v[2:3]
	ds_write_b128 v134, v[6:9] offset:7200
	v_add_co_u32_e32 v6, vcc, s20, v68
	v_accvgpr_write_b32 a51, v17
	s_nop 0
	v_addc_co_u32_e32 v7, vcc, 0, v69, vcc
	v_accvgpr_write_b32 a50, v16
	v_accvgpr_write_b32 a49, v15
	;; [unrolled: 1-line block ×3, first 2 shown]
	global_load_dwordx4 v[2:5], v[10:11], off
	global_load_dwordx4 v[14:17], v[6:7], off offset:1616
	s_waitcnt vmcnt(0)
	v_mul_f64 v[6:7], v[4:5], v[16:17]
	v_fmac_f64_e32 v[6:7], v[2:3], v[14:15]
	v_mul_f64 v[2:3], v[2:3], v[16:17]
	v_fma_f64 v[8:9], v[4:5], v[14:15], -v[2:3]
	ds_write_b128 v134, v[6:9] offset:18000
	v_mad_u64_u32 v[6:7], s[4:5], s8, v12, v[10:11]
	v_add_u32_e32 v7, s2, v7
	global_load_dwordx4 v[2:5], v[6:7], off
	global_load_dwordx4 v[8:11], v[0:1], off offset:128
	v_accvgpr_write_b32 a55, v17
	v_accvgpr_write_b32 a54, v16
	;; [unrolled: 1-line block ×4, first 2 shown]
	s_waitcnt vmcnt(0)
	v_mul_f64 v[0:1], v[4:5], v[10:11]
	v_fmac_f64_e32 v[0:1], v[2:3], v[8:9]
	v_mul_f64 v[2:3], v[2:3], v[10:11]
	v_accvgpr_write_b32 a59, v11
	v_fma_f64 v[2:3], v[4:5], v[8:9], -v[2:3]
	v_accvgpr_write_b32 a58, v10
	v_accvgpr_write_b32 a57, v9
	;; [unrolled: 1-line block ×3, first 2 shown]
	v_mad_u64_u32 v[8:9], s[4:5], s8, v12, v[6:7]
	v_add_co_u32_e32 v4, vcc, s3, v68
	v_add_u32_e32 v9, s2, v9
	s_nop 0
	v_addc_co_u32_e32 v5, vcc, 0, v69, vcc
	ds_write_b128 v134, v[0:3] offset:28800
	global_load_dwordx4 v[0:3], v[8:9], off
	global_load_dwordx4 v[14:17], v[4:5], off offset:2736
	s_waitcnt vmcnt(0)
	v_mul_f64 v[4:5], v[2:3], v[16:17]
	v_fmac_f64_e32 v[4:5], v[0:1], v[14:15]
	v_mul_f64 v[0:1], v[0:1], v[16:17]
	v_fma_f64 v[6:7], v[2:3], v[14:15], -v[0:1]
	v_mad_u64_u32 v[0:1], s[4:5], s8, v12, v[8:9]
	v_add_u32_e32 v1, s2, v1
	s_mov_b32 s2, 0xc000
	ds_write_b128 v134, v[4:7] offset:39600
	v_add_co_u32_e32 v4, vcc, s2, v68
	global_load_dwordx4 v[0:3], v[0:1], off
	s_nop 0
	v_addc_co_u32_e32 v5, vcc, 0, v69, vcc
	global_load_dwordx4 v[4:7], v[4:5], off offset:1248
	v_accvgpr_write_b32 a63, v17
	v_accvgpr_write_b32 a62, v16
	;; [unrolled: 1-line block ×4, first 2 shown]
	s_mov_b32 s2, 0x134454ff
	s_mov_b32 s3, 0x3fee6f0e
	;; [unrolled: 1-line block ×8, first 2 shown]
	s_waitcnt vmcnt(0)
	v_mov_b64_e32 v[8:9], v[6:7]
	v_mov_b64_e32 v[6:7], v[4:5]
	v_mul_f64 v[4:5], v[2:3], v[8:9]
	v_fmac_f64_e32 v[4:5], v[0:1], v[6:7]
	v_mul_f64 v[0:1], v[0:1], v[8:9]
	v_mov_b64_e32 v[10:11], v[8:9]
	v_mov_b64_e32 v[8:9], v[6:7]
	v_fma_f64 v[6:7], v[2:3], v[8:9], -v[0:1]
	v_accvgpr_write_b32 a4, v8
	v_accvgpr_write_b32 a5, v9
	;; [unrolled: 1-line block ×4, first 2 shown]
	ds_write_b128 v134, v[4:7] offset:50400
	s_waitcnt lgkmcnt(0)
	s_barrier
	ds_read_b128 v[0:3], v134
	ds_read_b128 v[60:63], v134 offset:10800
	ds_read_b128 v[64:67], v134 offset:21600
	;; [unrolled: 1-line block ×14, first 2 shown]
	s_waitcnt lgkmcnt(13)
	v_add_f64 v[16:17], v[0:1], v[60:61]
	s_waitcnt lgkmcnt(12)
	v_add_f64 v[16:17], v[16:17], v[64:65]
	;; [unrolled: 2-line block ×4, first 2 shown]
	v_add_f64 v[16:17], v[64:65], v[76:77]
	v_fma_f64 v[16:17], -0.5, v[16:17], v[0:1]
	v_add_f64 v[18:19], v[62:63], -v[84:85]
	v_fma_f64 v[32:33], s[2:3], v[18:19], v[16:17]
	v_add_f64 v[26:27], v[66:67], -v[78:79]
	v_add_f64 v[34:35], v[60:61], -v[64:65]
	;; [unrolled: 1-line block ×3, first 2 shown]
	v_fmac_f64_e32 v[16:17], s[12:13], v[18:19]
	v_fmac_f64_e32 v[32:33], s[4:5], v[26:27]
	v_add_f64 v[34:35], v[34:35], v[52:53]
	v_fmac_f64_e32 v[16:17], s[10:11], v[26:27]
	v_fmac_f64_e32 v[32:33], s[8:9], v[34:35]
	;; [unrolled: 1-line block ×3, first 2 shown]
	v_add_f64 v[34:35], v[60:61], v[82:83]
	v_fmac_f64_e32 v[0:1], -0.5, v[34:35]
	v_fma_f64 v[52:53], s[12:13], v[26:27], v[0:1]
	v_fmac_f64_e32 v[0:1], s[2:3], v[26:27]
	v_fmac_f64_e32 v[52:53], s[4:5], v[18:19]
	;; [unrolled: 1-line block ×3, first 2 shown]
	v_add_f64 v[18:19], v[2:3], v[62:63]
	v_add_f64 v[18:19], v[18:19], v[66:67]
	;; [unrolled: 1-line block ×3, first 2 shown]
	v_add_f64 v[34:35], v[64:65], -v[60:61]
	v_add_f64 v[54:55], v[76:77], -v[82:83]
	v_add_f64 v[26:27], v[18:19], v[84:85]
	v_add_f64 v[18:19], v[66:67], v[78:79]
	v_add_f64 v[34:35], v[34:35], v[54:55]
	v_fma_f64 v[18:19], -0.5, v[18:19], v[2:3]
	v_add_f64 v[60:61], v[60:61], -v[82:83]
	v_fmac_f64_e32 v[52:53], s[8:9], v[34:35]
	v_fmac_f64_e32 v[0:1], s[8:9], v[34:35]
	v_fma_f64 v[34:35], s[12:13], v[60:61], v[18:19]
	v_add_f64 v[64:65], v[64:65], -v[76:77]
	v_add_f64 v[54:55], v[62:63], -v[66:67]
	v_add_f64 v[76:77], v[84:85], -v[78:79]
	v_fmac_f64_e32 v[18:19], s[2:3], v[60:61]
	v_fmac_f64_e32 v[34:35], s[10:11], v[64:65]
	v_add_f64 v[54:55], v[54:55], v[76:77]
	v_fmac_f64_e32 v[18:19], s[4:5], v[64:65]
	v_fmac_f64_e32 v[34:35], s[8:9], v[54:55]
	;; [unrolled: 1-line block ×3, first 2 shown]
	v_add_f64 v[54:55], v[62:63], v[84:85]
	v_fmac_f64_e32 v[2:3], -0.5, v[54:55]
	v_fma_f64 v[54:55], s[2:3], v[64:65], v[2:3]
	v_add_f64 v[62:63], v[66:67], -v[62:63]
	v_add_f64 v[66:67], v[78:79], -v[84:85]
	v_fmac_f64_e32 v[2:3], s[12:13], v[64:65]
	v_fmac_f64_e32 v[54:55], s[10:11], v[60:61]
	v_add_f64 v[62:63], v[62:63], v[66:67]
	v_fmac_f64_e32 v[2:3], s[4:5], v[60:61]
	v_fmac_f64_e32 v[54:55], s[8:9], v[62:63]
	;; [unrolled: 1-line block ×3, first 2 shown]
	s_waitcnt lgkmcnt(6)
	v_add_f64 v[62:63], v[44:45], v[48:49]
	v_fma_f64 v[64:65], -0.5, v[62:63], v[4:5]
	s_waitcnt lgkmcnt(5)
	v_add_f64 v[62:63], v[42:43], -v[58:59]
	v_fma_f64 v[76:77], s[2:3], v[62:63], v[64:65]
	v_add_f64 v[66:67], v[46:47], -v[50:51]
	v_add_f64 v[78:79], v[40:41], -v[44:45]
	;; [unrolled: 1-line block ×3, first 2 shown]
	v_fmac_f64_e32 v[64:65], s[12:13], v[62:63]
	v_fmac_f64_e32 v[76:77], s[4:5], v[66:67]
	v_add_f64 v[78:79], v[78:79], v[82:83]
	v_fmac_f64_e32 v[64:65], s[10:11], v[66:67]
	v_fmac_f64_e32 v[76:77], s[8:9], v[78:79]
	;; [unrolled: 1-line block ×3, first 2 shown]
	v_add_f64 v[78:79], v[40:41], v[56:57]
	v_add_f64 v[60:61], v[4:5], v[40:41]
	v_fmac_f64_e32 v[4:5], -0.5, v[78:79]
	v_add_f64 v[60:61], v[60:61], v[44:45]
	v_fma_f64 v[84:85], s[12:13], v[66:67], v[4:5]
	v_add_f64 v[78:79], v[44:45], -v[40:41]
	v_add_f64 v[82:83], v[48:49], -v[56:57]
	v_fmac_f64_e32 v[4:5], s[2:3], v[66:67]
	v_add_f64 v[66:67], v[46:47], v[50:51]
	v_add_f64 v[60:61], v[60:61], v[48:49]
	v_fmac_f64_e32 v[84:85], s[4:5], v[62:63]
	v_add_f64 v[78:79], v[78:79], v[82:83]
	v_fmac_f64_e32 v[4:5], s[10:11], v[62:63]
	v_fma_f64 v[66:67], -0.5, v[66:67], v[6:7]
	v_add_f64 v[40:41], v[40:41], -v[56:57]
	v_add_f64 v[60:61], v[60:61], v[56:57]
	v_fmac_f64_e32 v[84:85], s[8:9], v[78:79]
	v_fmac_f64_e32 v[4:5], s[8:9], v[78:79]
	v_fma_f64 v[78:79], s[12:13], v[40:41], v[66:67]
	v_add_f64 v[44:45], v[44:45], -v[48:49]
	v_add_f64 v[48:49], v[42:43], -v[46:47]
	;; [unrolled: 1-line block ×3, first 2 shown]
	v_fmac_f64_e32 v[66:67], s[2:3], v[40:41]
	v_fmac_f64_e32 v[78:79], s[10:11], v[44:45]
	v_add_f64 v[48:49], v[48:49], v[56:57]
	v_fmac_f64_e32 v[66:67], s[4:5], v[44:45]
	v_fmac_f64_e32 v[78:79], s[8:9], v[48:49]
	;; [unrolled: 1-line block ×3, first 2 shown]
	v_add_f64 v[48:49], v[42:43], v[58:59]
	v_add_f64 v[62:63], v[6:7], v[42:43]
	v_fmac_f64_e32 v[6:7], -0.5, v[48:49]
	v_add_f64 v[62:63], v[62:63], v[46:47]
	v_fma_f64 v[86:87], s[2:3], v[44:45], v[6:7]
	v_add_f64 v[42:43], v[46:47], -v[42:43]
	v_add_f64 v[46:47], v[50:51], -v[58:59]
	v_fmac_f64_e32 v[6:7], s[12:13], v[44:45]
	v_fmac_f64_e32 v[86:87], s[10:11], v[40:41]
	v_add_f64 v[42:43], v[42:43], v[46:47]
	v_fmac_f64_e32 v[6:7], s[4:5], v[40:41]
	v_fmac_f64_e32 v[86:87], s[8:9], v[42:43]
	;; [unrolled: 1-line block ×3, first 2 shown]
	s_waitcnt lgkmcnt(1)
	v_add_f64 v[42:43], v[20:21], v[28:29]
	v_fma_f64 v[44:45], -0.5, v[42:43], v[8:9]
	s_waitcnt lgkmcnt(0)
	v_add_f64 v[42:43], v[14:15], -v[38:39]
	v_add_f64 v[62:63], v[62:63], v[50:51]
	v_fma_f64 v[48:49], s[2:3], v[42:43], v[44:45]
	v_add_f64 v[46:47], v[22:23], -v[30:31]
	v_add_f64 v[50:51], v[12:13], -v[20:21]
	;; [unrolled: 1-line block ×3, first 2 shown]
	v_fmac_f64_e32 v[44:45], s[12:13], v[42:43]
	v_fmac_f64_e32 v[48:49], s[4:5], v[46:47]
	v_add_f64 v[50:51], v[50:51], v[56:57]
	v_fmac_f64_e32 v[44:45], s[10:11], v[46:47]
	v_fmac_f64_e32 v[48:49], s[8:9], v[50:51]
	;; [unrolled: 1-line block ×3, first 2 shown]
	v_add_f64 v[50:51], v[12:13], v[36:37]
	v_add_f64 v[40:41], v[8:9], v[12:13]
	v_fmac_f64_e32 v[8:9], -0.5, v[50:51]
	v_add_f64 v[62:63], v[62:63], v[58:59]
	v_add_f64 v[40:41], v[40:41], v[20:21]
	v_fma_f64 v[56:57], s[12:13], v[46:47], v[8:9]
	v_add_f64 v[50:51], v[20:21], -v[12:13]
	v_add_f64 v[58:59], v[28:29], -v[36:37]
	v_fmac_f64_e32 v[8:9], s[2:3], v[46:47]
	v_add_f64 v[46:47], v[22:23], v[30:31]
	v_add_f64 v[40:41], v[40:41], v[28:29]
	v_fmac_f64_e32 v[56:57], s[4:5], v[42:43]
	v_add_f64 v[50:51], v[50:51], v[58:59]
	v_fmac_f64_e32 v[8:9], s[10:11], v[42:43]
	v_fma_f64 v[46:47], -0.5, v[46:47], v[10:11]
	v_add_f64 v[12:13], v[12:13], -v[36:37]
	v_add_f64 v[40:41], v[40:41], v[36:37]
	v_fmac_f64_e32 v[56:57], s[8:9], v[50:51]
	v_fmac_f64_e32 v[8:9], s[8:9], v[50:51]
	v_fma_f64 v[50:51], s[12:13], v[12:13], v[46:47]
	v_add_f64 v[20:21], v[20:21], -v[28:29]
	v_add_f64 v[28:29], v[14:15], -v[22:23]
	;; [unrolled: 1-line block ×3, first 2 shown]
	v_fmac_f64_e32 v[46:47], s[2:3], v[12:13]
	v_fmac_f64_e32 v[50:51], s[10:11], v[20:21]
	v_add_f64 v[28:29], v[28:29], v[36:37]
	v_fmac_f64_e32 v[46:47], s[4:5], v[20:21]
	v_fmac_f64_e32 v[50:51], s[8:9], v[28:29]
	;; [unrolled: 1-line block ×3, first 2 shown]
	v_add_f64 v[28:29], v[14:15], v[38:39]
	v_add_f64 v[42:43], v[10:11], v[14:15]
	v_fmac_f64_e32 v[10:11], -0.5, v[28:29]
	v_fma_f64 v[58:59], s[2:3], v[20:21], v[10:11]
	v_fmac_f64_e32 v[10:11], s[12:13], v[20:21]
	v_fmac_f64_e32 v[58:59], s[10:11], v[12:13]
	;; [unrolled: 1-line block ×3, first 2 shown]
	v_mul_lo_u16_e32 v12, 5, v80
	v_lshlrev_b32_e32 v82, 4, v12
	v_add_f64 v[42:43], v[42:43], v[22:23]
	s_barrier
	ds_write_b128 v82, v[24:27]
	ds_write_b128 v82, v[32:35] offset:16
	ds_write_b128 v82, v[52:55] offset:32
	;; [unrolled: 1-line block ×4, first 2 shown]
	v_mul_u32_u24_e32 v0, 5, v74
	v_add_f64 v[42:43], v[42:43], v[30:31]
	v_add_f64 v[14:15], v[22:23], -v[14:15]
	v_add_f64 v[22:23], v[30:31], -v[38:39]
	v_lshlrev_b32_e32 v83, 4, v0
	v_mul_u32_u24_e32 v0, 5, v92
	v_add_f64 v[42:43], v[42:43], v[38:39]
	v_add_f64 v[14:15], v[14:15], v[22:23]
	v_lshlrev_b32_e32 v0, 4, v0
	v_fmac_f64_e32 v[58:59], s[8:9], v[14:15]
	v_fmac_f64_e32 v[10:11], s[8:9], v[14:15]
	ds_write_b128 v83, v[60:63]
	ds_write_b128 v83, v[76:79] offset:16
	ds_write_b128 v83, v[84:87] offset:32
	;; [unrolled: 1-line block ×4, first 2 shown]
	ds_write_b128 v0, v[40:43]
	ds_write_b128 v0, v[48:51] offset:16
	ds_write_b128 v0, v[56:59] offset:32
	;; [unrolled: 1-line block ×4, first 2 shown]
	v_mul_lo_u16_sdwa v44, v80, s14 dst_sel:DWORD dst_unused:UNUSED_PAD src0_sel:BYTE_0 src1_sel:DWORD
	v_lshrrev_b16_e32 v71, 10, v44
	v_mul_lo_u16_e32 v44, 5, v71
	v_sub_u16_e32 v44, v80, v44
	v_and_b32_e32 v73, 0xff, v44
	v_lshlrev_b32_e32 v44, 6, v73
	v_accvgpr_write_b32 a114, v0
	s_waitcnt lgkmcnt(0)
	s_barrier
	ds_read_b128 v[8:11], v134
	ds_read_b128 v[48:51], v134 offset:10800
	ds_read_b128 v[52:55], v134 offset:21600
	;; [unrolled: 1-line block ×14, first 2 shown]
	global_load_dwordx4 v[148:151], v44, s[6:7] offset:48
	global_load_dwordx4 v[152:155], v44, s[6:7] offset:32
	global_load_dwordx4 v[156:159], v44, s[6:7] offset:16
	global_load_dwordx4 v[160:163], v44, s[6:7]
	s_mov_b32 s14, 0xcccd
	s_waitcnt vmcnt(0) lgkmcnt(13)
	v_mul_f64 v[44:45], v[50:51], v[162:163]
	v_fma_f64 v[46:47], v[48:49], v[160:161], -v[44:45]
	s_waitcnt lgkmcnt(12)
	v_mul_f64 v[44:45], v[54:55], v[158:159]
	v_fma_f64 v[60:61], v[52:53], v[156:157], -v[44:45]
	s_waitcnt lgkmcnt(11)
	;; [unrolled: 3-line block ×3, first 2 shown]
	v_mul_f64 v[44:45], v[78:79], v[150:151]
	v_fma_f64 v[64:65], v[76:77], v[148:149], -v[44:45]
	v_mul_u32_u24_sdwa v44, v74, s14 dst_sel:DWORD dst_unused:UNUSED_PAD src0_sel:WORD_0 src1_sel:DWORD
	v_lshrrev_b32_e32 v84, 18, v44
	v_mul_lo_u16_e32 v44, 5, v84
	v_sub_u16_e32 v85, v74, v44
	v_lshlrev_b16_e32 v44, 2, v85
	v_lshlrev_b32_e32 v44, 4, v44
	global_load_dwordx4 v[164:167], v44, s[6:7] offset:48
	global_load_dwordx4 v[168:171], v44, s[6:7] offset:32
	;; [unrolled: 1-line block ×3, first 2 shown]
	global_load_dwordx4 v[176:179], v44, s[6:7]
	v_mul_f64 v[56:57], v[56:57], v[154:155]
	v_fmac_f64_e32 v[56:57], v[58:59], v[152:153]
	v_mul_f64 v[58:59], v[76:77], v[150:151]
	v_fmac_f64_e32 v[58:59], v[78:79], v[148:149]
	;; [unrolled: 2-line block ×4, first 2 shown]
	s_waitcnt vmcnt(0) lgkmcnt(8)
	v_mul_f64 v[44:45], v[42:43], v[178:179]
	v_fma_f64 v[76:77], v[40:41], v[176:177], -v[44:45]
	v_mul_f64 v[66:67], v[40:41], v[178:179]
	s_waitcnt lgkmcnt(7)
	v_mul_f64 v[40:41], v[38:39], v[174:175]
	v_fma_f64 v[78:79], v[36:37], v[172:173], -v[40:41]
	v_mul_f64 v[36:37], v[36:37], v[174:175]
	v_fmac_f64_e32 v[36:37], v[38:39], v[172:173]
	s_waitcnt lgkmcnt(6)
	v_mul_f64 v[38:39], v[34:35], v[170:171]
	v_fma_f64 v[38:39], v[32:33], v[168:169], -v[38:39]
	v_mul_f64 v[32:33], v[32:33], v[170:171]
	v_fmac_f64_e32 v[32:33], v[34:35], v[168:169]
	;; [unrolled: 5-line block ×3, first 2 shown]
	v_mul_u32_u24_sdwa v30, v92, s14 dst_sel:DWORD dst_unused:UNUSED_PAD src0_sel:WORD_0 src1_sel:DWORD
	v_lshrrev_b32_e32 v86, 18, v30
	v_mul_lo_u16_e32 v30, 5, v86
	v_sub_u16_e32 v87, v92, v30
	v_lshlrev_b16_e32 v30, 2, v87
	v_lshlrev_b32_e32 v30, 4, v30
	global_load_dwordx4 v[180:183], v30, s[6:7] offset:48
	global_load_dwordx4 v[184:187], v30, s[6:7] offset:32
	global_load_dwordx4 v[188:191], v30, s[6:7] offset:16
	global_load_dwordx4 v[192:195], v30, s[6:7]
	v_fmac_f64_e32 v[66:67], v[42:43], v[176:177]
	s_waitcnt lgkmcnt(0)
	s_barrier
	s_movk_i32 s14, 0x47af
	s_waitcnt vmcnt(3)
	v_mul_f64 v[102:103], v[12:13], v[182:183]
	s_waitcnt vmcnt(2)
	v_mul_f64 v[98:99], v[16:17], v[186:187]
	;; [unrolled: 2-line block ×4, first 2 shown]
	v_fma_f64 v[30:31], v[24:25], v[192:193], -v[30:31]
	v_mul_f64 v[88:89], v[24:25], v[194:195]
	v_mul_f64 v[24:25], v[22:23], v[190:191]
	v_fma_f64 v[90:91], v[20:21], v[188:189], -v[24:25]
	v_mul_f64 v[20:21], v[18:19], v[186:187]
	v_fma_f64 v[96:97], v[16:17], v[184:185], -v[20:21]
	;; [unrolled: 2-line block ×3, first 2 shown]
	v_add_f64 v[12:13], v[8:9], v[46:47]
	v_add_f64 v[12:13], v[12:13], v[60:61]
	;; [unrolled: 1-line block ×5, first 2 shown]
	v_fma_f64 v[24:25], -0.5, v[12:13], v[8:9]
	v_add_f64 v[12:13], v[48:49], -v[58:59]
	v_fmac_f64_e32 v[98:99], v[18:19], v[184:185]
	v_fmac_f64_e32 v[102:103], v[14:15], v[180:181]
	v_fma_f64 v[44:45], s[2:3], v[12:13], v[24:25]
	v_add_f64 v[14:15], v[50:51], -v[56:57]
	v_add_f64 v[16:17], v[46:47], -v[60:61]
	;; [unrolled: 1-line block ×3, first 2 shown]
	v_fmac_f64_e32 v[24:25], s[12:13], v[12:13]
	v_fmac_f64_e32 v[44:45], s[4:5], v[14:15]
	v_add_f64 v[16:17], v[16:17], v[18:19]
	v_fmac_f64_e32 v[24:25], s[10:11], v[14:15]
	v_fmac_f64_e32 v[44:45], s[8:9], v[16:17]
	;; [unrolled: 1-line block ×3, first 2 shown]
	v_add_f64 v[16:17], v[46:47], v[64:65]
	v_fmac_f64_e32 v[8:9], -0.5, v[16:17]
	v_fma_f64 v[40:41], s[12:13], v[14:15], v[8:9]
	v_fmac_f64_e32 v[8:9], s[2:3], v[14:15]
	v_fmac_f64_e32 v[40:41], s[4:5], v[12:13]
	;; [unrolled: 1-line block ×3, first 2 shown]
	v_add_f64 v[12:13], v[10:11], v[48:49]
	v_add_f64 v[12:13], v[12:13], v[50:51]
	;; [unrolled: 1-line block ×3, first 2 shown]
	v_add_f64 v[16:17], v[60:61], -v[46:47]
	v_add_f64 v[18:19], v[62:63], -v[64:65]
	v_add_f64 v[54:55], v[12:13], v[58:59]
	v_add_f64 v[12:13], v[50:51], v[56:57]
	v_fmac_f64_e32 v[88:89], v[26:27], v[192:193]
	v_add_f64 v[16:17], v[16:17], v[18:19]
	v_fma_f64 v[26:27], -0.5, v[12:13], v[10:11]
	v_add_f64 v[12:13], v[46:47], -v[64:65]
	v_fmac_f64_e32 v[40:41], s[8:9], v[16:17]
	v_fmac_f64_e32 v[8:9], s[8:9], v[16:17]
	v_fma_f64 v[46:47], s[12:13], v[12:13], v[26:27]
	v_add_f64 v[14:15], v[60:61], -v[62:63]
	v_add_f64 v[16:17], v[48:49], -v[50:51]
	;; [unrolled: 1-line block ×3, first 2 shown]
	v_fmac_f64_e32 v[26:27], s[2:3], v[12:13]
	v_fmac_f64_e32 v[46:47], s[10:11], v[14:15]
	v_add_f64 v[16:17], v[16:17], v[18:19]
	v_fmac_f64_e32 v[26:27], s[4:5], v[14:15]
	v_fmac_f64_e32 v[46:47], s[8:9], v[16:17]
	;; [unrolled: 1-line block ×3, first 2 shown]
	v_add_f64 v[16:17], v[48:49], v[58:59]
	v_fmac_f64_e32 v[10:11], -0.5, v[16:17]
	v_fma_f64 v[42:43], s[2:3], v[14:15], v[10:11]
	v_fmac_f64_e32 v[10:11], s[12:13], v[14:15]
	v_fmac_f64_e32 v[42:43], s[10:11], v[12:13]
	;; [unrolled: 1-line block ×3, first 2 shown]
	v_add_f64 v[12:13], v[4:5], v[76:77]
	v_add_f64 v[12:13], v[12:13], v[78:79]
	;; [unrolled: 1-line block ×3, first 2 shown]
	v_add_f64 v[16:17], v[50:51], -v[48:49]
	v_add_f64 v[18:19], v[56:57], -v[58:59]
	v_add_f64 v[56:57], v[12:13], v[34:35]
	v_add_f64 v[12:13], v[78:79], v[38:39]
	;; [unrolled: 1-line block ×3, first 2 shown]
	v_fma_f64 v[12:13], -0.5, v[12:13], v[4:5]
	v_add_f64 v[14:15], v[66:67], -v[28:29]
	v_fmac_f64_e32 v[42:43], s[8:9], v[16:17]
	v_fmac_f64_e32 v[10:11], s[8:9], v[16:17]
	v_fma_f64 v[48:49], s[2:3], v[14:15], v[12:13]
	v_add_f64 v[18:19], v[36:37], -v[32:33]
	v_add_f64 v[16:17], v[76:77], -v[78:79]
	;; [unrolled: 1-line block ×3, first 2 shown]
	v_fmac_f64_e32 v[12:13], s[12:13], v[14:15]
	v_fmac_f64_e32 v[48:49], s[4:5], v[18:19]
	v_add_f64 v[16:17], v[16:17], v[20:21]
	v_fmac_f64_e32 v[12:13], s[10:11], v[18:19]
	v_fmac_f64_e32 v[48:49], s[8:9], v[16:17]
	;; [unrolled: 1-line block ×3, first 2 shown]
	v_add_f64 v[16:17], v[76:77], v[34:35]
	v_fmac_f64_e32 v[4:5], -0.5, v[16:17]
	v_fma_f64 v[16:17], s[12:13], v[18:19], v[4:5]
	v_fmac_f64_e32 v[4:5], s[2:3], v[18:19]
	v_fmac_f64_e32 v[16:17], s[4:5], v[14:15]
	;; [unrolled: 1-line block ×3, first 2 shown]
	v_add_f64 v[14:15], v[6:7], v[66:67]
	v_add_f64 v[14:15], v[14:15], v[36:37]
	v_fmac_f64_e32 v[94:95], v[22:23], v[188:189]
	v_add_f64 v[20:21], v[78:79], -v[76:77]
	v_add_f64 v[22:23], v[38:39], -v[34:35]
	v_add_f64 v[14:15], v[14:15], v[32:33]
	v_add_f64 v[20:21], v[20:21], v[22:23]
	v_add_f64 v[58:59], v[14:15], v[28:29]
	v_add_f64 v[14:15], v[36:37], v[32:33]
	v_fmac_f64_e32 v[16:17], s[8:9], v[20:21]
	v_fmac_f64_e32 v[4:5], s[8:9], v[20:21]
	v_fma_f64 v[14:15], -0.5, v[14:15], v[6:7]
	v_add_f64 v[20:21], v[76:77], -v[34:35]
	v_fma_f64 v[50:51], s[12:13], v[20:21], v[14:15]
	v_add_f64 v[22:23], v[78:79], -v[38:39]
	v_add_f64 v[18:19], v[66:67], -v[36:37]
	;; [unrolled: 1-line block ×3, first 2 shown]
	v_fmac_f64_e32 v[14:15], s[2:3], v[20:21]
	v_fmac_f64_e32 v[50:51], s[10:11], v[22:23]
	v_add_f64 v[18:19], v[18:19], v[34:35]
	v_fmac_f64_e32 v[14:15], s[4:5], v[22:23]
	v_fmac_f64_e32 v[50:51], s[8:9], v[18:19]
	;; [unrolled: 1-line block ×3, first 2 shown]
	v_add_f64 v[18:19], v[66:67], v[28:29]
	v_fmac_f64_e32 v[6:7], -0.5, v[18:19]
	v_fma_f64 v[18:19], s[2:3], v[22:23], v[6:7]
	v_fmac_f64_e32 v[6:7], s[12:13], v[22:23]
	v_fmac_f64_e32 v[18:19], s[10:11], v[20:21]
	v_fmac_f64_e32 v[6:7], s[4:5], v[20:21]
	v_add_f64 v[20:21], v[0:1], v[30:31]
	v_add_f64 v[20:21], v[20:21], v[90:91]
	;; [unrolled: 1-line block ×3, first 2 shown]
	v_add_f64 v[34:35], v[36:37], -v[66:67]
	v_add_f64 v[28:29], v[32:33], -v[28:29]
	v_add_f64 v[32:33], v[20:21], v[100:101]
	v_add_f64 v[20:21], v[90:91], v[96:97]
	;; [unrolled: 1-line block ×3, first 2 shown]
	v_fma_f64 v[20:21], -0.5, v[20:21], v[0:1]
	v_add_f64 v[22:23], v[88:89], -v[102:103]
	v_fmac_f64_e32 v[18:19], s[8:9], v[28:29]
	v_fmac_f64_e32 v[6:7], s[8:9], v[28:29]
	v_fma_f64 v[28:29], s[2:3], v[22:23], v[20:21]
	v_add_f64 v[34:35], v[94:95], -v[98:99]
	v_add_f64 v[36:37], v[30:31], -v[90:91]
	v_add_f64 v[38:39], v[100:101], -v[96:97]
	v_fmac_f64_e32 v[20:21], s[12:13], v[22:23]
	v_fmac_f64_e32 v[28:29], s[4:5], v[34:35]
	v_add_f64 v[36:37], v[36:37], v[38:39]
	v_fmac_f64_e32 v[20:21], s[10:11], v[34:35]
	v_fmac_f64_e32 v[28:29], s[8:9], v[36:37]
	v_fmac_f64_e32 v[20:21], s[8:9], v[36:37]
	v_add_f64 v[36:37], v[30:31], v[100:101]
	v_fmac_f64_e32 v[0:1], -0.5, v[36:37]
	v_fma_f64 v[36:37], s[12:13], v[34:35], v[0:1]
	v_fmac_f64_e32 v[0:1], s[2:3], v[34:35]
	v_fmac_f64_e32 v[36:37], s[4:5], v[22:23]
	;; [unrolled: 1-line block ×3, first 2 shown]
	v_add_f64 v[22:23], v[2:3], v[88:89]
	v_add_f64 v[22:23], v[22:23], v[94:95]
	;; [unrolled: 1-line block ×3, first 2 shown]
	v_add_f64 v[38:39], v[90:91], -v[30:31]
	v_add_f64 v[60:61], v[96:97], -v[100:101]
	v_add_f64 v[34:35], v[22:23], v[102:103]
	v_add_f64 v[22:23], v[94:95], v[98:99]
	;; [unrolled: 1-line block ×3, first 2 shown]
	v_fma_f64 v[22:23], -0.5, v[22:23], v[2:3]
	v_add_f64 v[60:61], v[30:31], -v[100:101]
	v_fmac_f64_e32 v[36:37], s[8:9], v[38:39]
	v_fmac_f64_e32 v[0:1], s[8:9], v[38:39]
	v_fma_f64 v[30:31], s[12:13], v[60:61], v[22:23]
	v_add_f64 v[62:63], v[90:91], -v[96:97]
	v_add_f64 v[38:39], v[88:89], -v[94:95]
	;; [unrolled: 1-line block ×3, first 2 shown]
	v_fmac_f64_e32 v[22:23], s[2:3], v[60:61]
	v_fmac_f64_e32 v[30:31], s[10:11], v[62:63]
	v_add_f64 v[38:39], v[38:39], v[64:65]
	v_fmac_f64_e32 v[22:23], s[4:5], v[62:63]
	v_fmac_f64_e32 v[30:31], s[8:9], v[38:39]
	;; [unrolled: 1-line block ×3, first 2 shown]
	v_add_f64 v[38:39], v[88:89], v[102:103]
	v_fmac_f64_e32 v[2:3], -0.5, v[38:39]
	v_fma_f64 v[38:39], s[2:3], v[62:63], v[2:3]
	v_fmac_f64_e32 v[2:3], s[12:13], v[62:63]
	v_fmac_f64_e32 v[38:39], s[10:11], v[60:61]
	;; [unrolled: 1-line block ×3, first 2 shown]
	v_mul_u32_u24_e32 v60, 25, v71
	v_add_lshl_u32 v60, v60, v73, 4
	ds_write_b128 v60, v[52:55]
	ds_write_b128 v60, v[44:47] offset:80
	ds_write_b128 v60, v[40:43] offset:160
	;; [unrolled: 1-line block ×4, first 2 shown]
	v_mad_legacy_u16 v8, v84, 25, v85
	v_lshlrev_b32_e32 v8, 4, v8
	ds_write_b128 v8, v[56:59]
	ds_write_b128 v8, v[48:51] offset:80
	ds_write_b128 v8, v[16:19] offset:160
	;; [unrolled: 1-line block ×4, first 2 shown]
	v_mov_b32_e32 v56, 41
	v_mul_lo_u16_sdwa v56, v80, v56 dst_sel:DWORD dst_unused:UNUSED_PAD src0_sel:BYTE_0 src1_sel:DWORD
	v_lshrrev_b16_e32 v71, 10, v56
	v_mul_lo_u16_e32 v56, 25, v71
	v_add_f64 v[64:65], v[94:95], -v[88:89]
	v_add_f64 v[66:67], v[98:99], -v[102:103]
	v_sub_u16_e32 v56, v80, v56
	v_add_f64 v[64:65], v[64:65], v[66:67]
	v_mad_legacy_u16 v4, v86, 25, v87
	v_and_b32_e32 v73, 0xff, v56
	v_fmac_f64_e32 v[38:39], s[8:9], v[64:65]
	v_fmac_f64_e32 v[2:3], s[8:9], v[64:65]
	v_lshlrev_b32_e32 v4, 4, v4
	v_lshlrev_b32_e32 v56, 6, v73
	v_accvgpr_write_b32 a112, v8
	ds_write_b128 v4, v[32:35]
	ds_write_b128 v4, v[28:31] offset:80
	ds_write_b128 v4, v[36:39] offset:160
	;; [unrolled: 1-line block ×4, first 2 shown]
	v_accvgpr_write_b32 a67, v4
	s_waitcnt lgkmcnt(0)
	s_barrier
	ds_read_b128 v[8:11], v134
	ds_read_b128 v[44:47], v134 offset:10800
	ds_read_b128 v[48:51], v134 offset:21600
	;; [unrolled: 1-line block ×14, first 2 shown]
	global_load_dwordx4 v[100:103], v56, s[6:7] offset:368
	global_load_dwordx4 v[84:87], v56, s[6:7] offset:352
	;; [unrolled: 1-line block ×4, first 2 shown]
	v_accvgpr_write_b32 a113, v60
	s_waitcnt vmcnt(3)
	v_accvgpr_write_b32 a88, v100
	v_accvgpr_write_b32 a89, v101
	;; [unrolled: 1-line block ×3, first 2 shown]
	s_waitcnt vmcnt(0) lgkmcnt(13)
	v_mul_f64 v[56:57], v[46:47], v[98:99]
	v_fma_f64 v[56:57], v[44:45], v[96:97], -v[56:57]
	v_mul_f64 v[44:45], v[44:45], v[98:99]
	v_fmac_f64_e32 v[44:45], v[46:47], v[96:97]
	s_waitcnt lgkmcnt(12)
	v_mul_f64 v[46:47], v[50:51], v[90:91]
	v_fma_f64 v[58:59], v[48:49], v[88:89], -v[46:47]
	v_mul_f64 v[46:47], v[48:49], v[90:91]
	s_waitcnt lgkmcnt(11)
	v_mul_f64 v[48:49], v[54:55], v[86:87]
	v_fma_f64 v[62:63], v[52:53], v[84:85], -v[48:49]
	s_waitcnt lgkmcnt(10)
	v_mul_f64 v[48:49], v[78:79], v[102:103]
	v_fma_f64 v[66:67], v[76:77], v[100:101], -v[48:49]
	v_mul_u32_u24_sdwa v48, v74, s14 dst_sel:DWORD dst_unused:UNUSED_PAD src0_sel:WORD_0 src1_sel:DWORD
	v_sub_u16_sdwa v49, v74, v48 dst_sel:DWORD dst_unused:UNUSED_PAD src0_sel:DWORD src1_sel:WORD_1
	v_lshrrev_b16_e32 v49, 1, v49
	v_add_u16_sdwa v48, v49, v48 dst_sel:DWORD dst_unused:UNUSED_PAD src0_sel:DWORD src1_sel:WORD_1
	v_lshrrev_b16_e32 v93, 4, v48
	v_mul_lo_u16_e32 v48, 25, v93
	v_sub_u16_e32 v132, v74, v48
	v_mul_f64 v[52:53], v[52:53], v[86:87]
	v_lshlrev_b16_e32 v48, 6, v132
	v_mov_b32_e32 v49, v135
	v_fmac_f64_e32 v[52:53], v[54:55], v[84:85]
	v_mul_f64 v[54:55], v[76:77], v[102:103]
	v_lshl_add_u64 v[48:49], s[6:7], 0, v[48:49]
	v_fmac_f64_e32 v[54:55], v[78:79], v[100:101]
	v_accvgpr_write_b32 a91, v103
	global_load_dwordx4 v[100:103], v[48:49], off offset:368
	global_load_dwordx4 v[104:107], v[48:49], off offset:352
	;; [unrolled: 1-line block ×4, first 2 shown]
	v_fmac_f64_e32 v[46:47], v[50:51], v[88:89]
	s_waitcnt vmcnt(1) lgkmcnt(7)
	v_mul_f64 v[50:51], v[36:37], v[114:115]
	s_waitcnt vmcnt(0)
	v_mul_f64 v[48:49], v[42:43], v[126:127]
	v_fma_f64 v[60:61], v[40:41], v[124:125], -v[48:49]
	v_mul_f64 v[48:49], v[40:41], v[126:127]
	v_mul_f64 v[40:41], v[38:39], v[114:115]
	v_fmac_f64_e32 v[48:49], v[42:43], v[124:125]
	v_fma_f64 v[42:43], v[36:37], v[112:113], -v[40:41]
	s_waitcnt lgkmcnt(6)
	v_mul_f64 v[36:37], v[34:35], v[106:107]
	v_fma_f64 v[64:65], v[32:33], v[104:105], -v[36:37]
	v_mul_f64 v[32:33], v[32:33], v[106:107]
	v_fmac_f64_e32 v[32:33], v[34:35], v[104:105]
	s_waitcnt lgkmcnt(5)
	v_mul_f64 v[34:35], v[30:31], v[102:103]
	v_fmac_f64_e32 v[50:51], v[38:39], v[112:113]
	v_fma_f64 v[38:39], v[28:29], v[100:101], -v[34:35]
	v_mul_f64 v[34:35], v[28:29], v[102:103]
	v_mul_u32_u24_sdwa v28, v92, s14 dst_sel:DWORD dst_unused:UNUSED_PAD src0_sel:WORD_0 src1_sel:DWORD
	v_sub_u16_sdwa v29, v92, v28 dst_sel:DWORD dst_unused:UNUSED_PAD src0_sel:DWORD src1_sel:WORD_1
	v_lshrrev_b16_e32 v29, 1, v29
	v_add_u16_sdwa v28, v29, v28 dst_sel:DWORD dst_unused:UNUSED_PAD src0_sel:DWORD src1_sel:WORD_1
	v_lshrrev_b16_e32 v133, 4, v28
	v_mul_lo_u16_e32 v28, 25, v133
	v_sub_u16_e32 v196, v92, v28
	v_lshlrev_b16_e32 v28, 6, v196
	v_mov_b32_e32 v29, v135
	v_lshl_add_u64 v[28:29], s[6:7], 0, v[28:29]
	global_load_dwordx4 v[76:79], v[28:29], off offset:368
	global_load_dwordx4 v[136:139], v[28:29], off offset:352
	;; [unrolled: 1-line block ×4, first 2 shown]
	v_fmac_f64_e32 v[34:35], v[30:31], v[100:101]
	v_add_f64 v[30:31], v[58:59], -v[62:63]
	v_add_f64 v[36:37], v[54:55], -v[52:53]
	;; [unrolled: 1-line block ×3, first 2 shown]
	s_movk_i32 s14, 0x7d
	s_waitcnt lgkmcnt(0)
	s_barrier
	v_cmp_gt_u16_e32 vcc, s14, v80
	s_waitcnt vmcnt(3)
	v_mul_f64 v[116:117], v[12:13], v[78:79]
	s_waitcnt vmcnt(2)
	v_mul_f64 v[110:111], v[16:17], v[138:139]
	;; [unrolled: 2-line block ×4, first 2 shown]
	v_fma_f64 v[118:119], v[24:25], v[144:145], -v[28:29]
	v_mul_f64 v[94:95], v[24:25], v[146:147]
	v_mul_f64 v[24:25], v[22:23], v[142:143]
	v_fma_f64 v[120:121], v[20:21], v[140:141], -v[24:25]
	v_mul_f64 v[20:21], v[18:19], v[138:139]
	v_fma_f64 v[122:123], v[16:17], v[136:137], -v[20:21]
	;; [unrolled: 2-line block ×3, first 2 shown]
	v_add_f64 v[12:13], v[8:9], v[56:57]
	v_add_f64 v[12:13], v[12:13], v[58:59]
	;; [unrolled: 1-line block ×5, first 2 shown]
	v_fmac_f64_e32 v[116:117], v[14:15], v[76:77]
	v_fma_f64 v[12:13], -0.5, v[12:13], v[8:9]
	v_add_f64 v[14:15], v[44:45], -v[54:55]
	v_fmac_f64_e32 v[108:109], v[22:23], v[140:141]
	v_fmac_f64_e32 v[110:111], v[18:19], v[136:137]
	v_fma_f64 v[16:17], s[2:3], v[14:15], v[12:13]
	v_add_f64 v[18:19], v[46:47], -v[52:53]
	v_add_f64 v[20:21], v[56:57], -v[58:59]
	;; [unrolled: 1-line block ×3, first 2 shown]
	v_fmac_f64_e32 v[12:13], s[12:13], v[14:15]
	v_fmac_f64_e32 v[16:17], s[4:5], v[18:19]
	v_add_f64 v[20:21], v[20:21], v[22:23]
	v_fmac_f64_e32 v[12:13], s[10:11], v[18:19]
	v_fmac_f64_e32 v[16:17], s[8:9], v[20:21]
	;; [unrolled: 1-line block ×3, first 2 shown]
	v_add_f64 v[20:21], v[56:57], v[66:67]
	v_fmac_f64_e32 v[8:9], -0.5, v[20:21]
	v_fma_f64 v[20:21], s[12:13], v[18:19], v[8:9]
	v_fmac_f64_e32 v[8:9], s[2:3], v[18:19]
	v_fmac_f64_e32 v[20:21], s[4:5], v[14:15]
	;; [unrolled: 1-line block ×3, first 2 shown]
	v_add_f64 v[14:15], v[10:11], v[44:45]
	v_add_f64 v[14:15], v[14:15], v[46:47]
	v_fmac_f64_e32 v[94:95], v[26:27], v[144:145]
	v_add_f64 v[22:23], v[58:59], -v[56:57]
	v_add_f64 v[26:27], v[62:63], -v[66:67]
	v_add_f64 v[14:15], v[14:15], v[52:53]
	v_add_f64 v[22:23], v[22:23], v[26:27]
	;; [unrolled: 1-line block ×4, first 2 shown]
	v_fma_f64 v[14:15], -0.5, v[14:15], v[10:11]
	v_add_f64 v[28:29], v[56:57], -v[66:67]
	v_fmac_f64_e32 v[20:21], s[8:9], v[22:23]
	v_fmac_f64_e32 v[8:9], s[8:9], v[22:23]
	v_fma_f64 v[18:19], s[12:13], v[28:29], v[14:15]
	v_add_f64 v[22:23], v[44:45], -v[46:47]
	v_fmac_f64_e32 v[14:15], s[2:3], v[28:29]
	v_fmac_f64_e32 v[18:19], s[10:11], v[30:31]
	v_add_f64 v[22:23], v[22:23], v[36:37]
	v_fmac_f64_e32 v[14:15], s[4:5], v[30:31]
	v_fmac_f64_e32 v[18:19], s[8:9], v[22:23]
	;; [unrolled: 1-line block ×3, first 2 shown]
	v_add_f64 v[22:23], v[44:45], v[54:55]
	v_fmac_f64_e32 v[10:11], -0.5, v[22:23]
	v_fma_f64 v[22:23], s[2:3], v[30:31], v[10:11]
	v_fmac_f64_e32 v[10:11], s[12:13], v[30:31]
	v_fmac_f64_e32 v[22:23], s[10:11], v[28:29]
	;; [unrolled: 1-line block ×3, first 2 shown]
	v_add_f64 v[28:29], v[4:5], v[60:61]
	v_add_f64 v[28:29], v[28:29], v[42:43]
	;; [unrolled: 1-line block ×3, first 2 shown]
	v_add_f64 v[36:37], v[46:47], -v[44:45]
	v_add_f64 v[44:45], v[28:29], v[38:39]
	v_add_f64 v[28:29], v[42:43], v[64:65]
	;; [unrolled: 1-line block ×3, first 2 shown]
	v_fma_f64 v[28:29], -0.5, v[28:29], v[4:5]
	v_add_f64 v[30:31], v[48:49], -v[34:35]
	v_fmac_f64_e32 v[22:23], s[8:9], v[36:37]
	v_fmac_f64_e32 v[10:11], s[8:9], v[36:37]
	v_fma_f64 v[36:37], s[2:3], v[30:31], v[28:29]
	v_add_f64 v[46:47], v[50:51], -v[32:33]
	v_add_f64 v[40:41], v[60:61], -v[42:43]
	;; [unrolled: 1-line block ×3, first 2 shown]
	v_fmac_f64_e32 v[28:29], s[12:13], v[30:31]
	v_fmac_f64_e32 v[36:37], s[4:5], v[46:47]
	v_add_f64 v[40:41], v[40:41], v[52:53]
	v_fmac_f64_e32 v[28:29], s[10:11], v[46:47]
	v_fmac_f64_e32 v[36:37], s[8:9], v[40:41]
	;; [unrolled: 1-line block ×3, first 2 shown]
	v_add_f64 v[40:41], v[60:61], v[38:39]
	v_fmac_f64_e32 v[4:5], -0.5, v[40:41]
	v_fma_f64 v[40:41], s[12:13], v[46:47], v[4:5]
	v_fmac_f64_e32 v[4:5], s[2:3], v[46:47]
	v_fmac_f64_e32 v[40:41], s[4:5], v[30:31]
	;; [unrolled: 1-line block ×3, first 2 shown]
	v_add_f64 v[30:31], v[6:7], v[48:49]
	v_add_f64 v[30:31], v[30:31], v[50:51]
	v_add_f64 v[52:53], v[42:43], -v[60:61]
	v_add_f64 v[54:55], v[64:65], -v[38:39]
	v_add_f64 v[30:31], v[30:31], v[32:33]
	v_add_f64 v[52:53], v[52:53], v[54:55]
	;; [unrolled: 1-line block ×4, first 2 shown]
	v_fmac_f64_e32 v[40:41], s[8:9], v[52:53]
	v_fmac_f64_e32 v[4:5], s[8:9], v[52:53]
	v_fma_f64 v[30:31], -0.5, v[30:31], v[6:7]
	v_add_f64 v[52:53], v[60:61], -v[38:39]
	v_fma_f64 v[38:39], s[12:13], v[52:53], v[30:31]
	v_add_f64 v[54:55], v[42:43], -v[64:65]
	v_add_f64 v[42:43], v[48:49], -v[50:51]
	;; [unrolled: 1-line block ×3, first 2 shown]
	v_fmac_f64_e32 v[30:31], s[2:3], v[52:53]
	v_fmac_f64_e32 v[38:39], s[10:11], v[54:55]
	v_add_f64 v[42:43], v[42:43], v[56:57]
	v_fmac_f64_e32 v[30:31], s[4:5], v[54:55]
	v_fmac_f64_e32 v[38:39], s[8:9], v[42:43]
	;; [unrolled: 1-line block ×3, first 2 shown]
	v_add_f64 v[42:43], v[48:49], v[34:35]
	v_fmac_f64_e32 v[6:7], -0.5, v[42:43]
	v_fma_f64 v[42:43], s[2:3], v[54:55], v[6:7]
	v_add_f64 v[48:49], v[50:51], -v[48:49]
	v_add_f64 v[32:33], v[32:33], -v[34:35]
	v_fmac_f64_e32 v[6:7], s[12:13], v[54:55]
	v_fmac_f64_e32 v[42:43], s[10:11], v[52:53]
	v_add_f64 v[32:33], v[48:49], v[32:33]
	v_fmac_f64_e32 v[6:7], s[4:5], v[52:53]
	v_fmac_f64_e32 v[42:43], s[8:9], v[32:33]
	v_fmac_f64_e32 v[6:7], s[8:9], v[32:33]
	v_add_f64 v[32:33], v[0:1], v[118:119]
	v_add_f64 v[32:33], v[32:33], v[120:121]
	v_add_f64 v[32:33], v[32:33], v[122:123]
	v_add_f64 v[52:53], v[32:33], v[130:131]
	v_add_f64 v[32:33], v[120:121], v[122:123]
	v_fma_f64 v[32:33], -0.5, v[32:33], v[0:1]
	v_add_f64 v[34:35], v[94:95], -v[116:117]
	v_fma_f64 v[48:49], s[2:3], v[34:35], v[32:33]
	v_add_f64 v[50:51], v[108:109], -v[110:111]
	v_add_f64 v[54:55], v[118:119], -v[120:121]
	v_add_f64 v[56:57], v[130:131], -v[122:123]
	v_fmac_f64_e32 v[32:33], s[12:13], v[34:35]
	v_fmac_f64_e32 v[48:49], s[4:5], v[50:51]
	v_add_f64 v[54:55], v[54:55], v[56:57]
	v_fmac_f64_e32 v[32:33], s[10:11], v[50:51]
	v_fmac_f64_e32 v[48:49], s[8:9], v[54:55]
	;; [unrolled: 1-line block ×3, first 2 shown]
	v_add_f64 v[54:55], v[118:119], v[130:131]
	v_fmac_f64_e32 v[0:1], -0.5, v[54:55]
	v_fma_f64 v[56:57], s[12:13], v[50:51], v[0:1]
	v_fmac_f64_e32 v[0:1], s[2:3], v[50:51]
	v_fmac_f64_e32 v[56:57], s[4:5], v[34:35]
	;; [unrolled: 1-line block ×3, first 2 shown]
	v_add_f64 v[34:35], v[2:3], v[94:95]
	v_add_f64 v[54:55], v[120:121], -v[118:119]
	v_add_f64 v[58:59], v[122:123], -v[130:131]
	v_add_f64 v[34:35], v[34:35], v[108:109]
	v_add_f64 v[54:55], v[54:55], v[58:59]
	;; [unrolled: 1-line block ×3, first 2 shown]
	v_fmac_f64_e32 v[56:57], s[8:9], v[54:55]
	v_fmac_f64_e32 v[0:1], s[8:9], v[54:55]
	v_add_f64 v[54:55], v[34:35], v[116:117]
	v_add_f64 v[34:35], v[108:109], v[110:111]
	v_fma_f64 v[34:35], -0.5, v[34:35], v[2:3]
	v_add_f64 v[60:61], v[118:119], -v[130:131]
	v_fma_f64 v[50:51], s[12:13], v[60:61], v[34:35]
	v_add_f64 v[62:63], v[120:121], -v[122:123]
	v_add_f64 v[58:59], v[94:95], -v[108:109]
	;; [unrolled: 1-line block ×3, first 2 shown]
	v_fmac_f64_e32 v[34:35], s[2:3], v[60:61]
	v_fmac_f64_e32 v[50:51], s[10:11], v[62:63]
	v_add_f64 v[58:59], v[58:59], v[64:65]
	v_fmac_f64_e32 v[34:35], s[4:5], v[62:63]
	v_fmac_f64_e32 v[50:51], s[8:9], v[58:59]
	;; [unrolled: 1-line block ×3, first 2 shown]
	v_add_f64 v[58:59], v[94:95], v[116:117]
	v_fmac_f64_e32 v[2:3], -0.5, v[58:59]
	v_fma_f64 v[58:59], s[2:3], v[62:63], v[2:3]
	v_fmac_f64_e32 v[2:3], s[12:13], v[62:63]
	v_fmac_f64_e32 v[58:59], s[10:11], v[60:61]
	v_fmac_f64_e32 v[2:3], s[4:5], v[60:61]
	v_mul_u32_u24_e32 v60, 0x7d, v71
	v_add_lshl_u32 v60, v60, v73, 4
	ds_write_b128 v60, v[24:27]
	ds_write_b128 v60, v[16:19] offset:400
	ds_write_b128 v60, v[20:23] offset:800
	;; [unrolled: 1-line block ×4, first 2 shown]
	v_mad_legacy_u16 v8, v93, s14, v132
	v_lshlrev_b32_e32 v8, 4, v8
	v_add_f64 v[64:65], v[108:109], -v[94:95]
	v_add_f64 v[66:67], v[110:111], -v[116:117]
	ds_write_b128 v8, v[44:47]
	ds_write_b128 v8, v[36:39] offset:400
	ds_write_b128 v8, v[40:43] offset:800
	;; [unrolled: 1-line block ×4, first 2 shown]
	v_mad_legacy_u16 v4, v133, s14, v196
	v_add_f64 v[64:65], v[64:65], v[66:67]
	v_lshlrev_b32_e32 v4, 4, v4
	v_fmac_f64_e32 v[58:59], s[8:9], v[64:65]
	v_fmac_f64_e32 v[2:3], s[8:9], v[64:65]
	ds_write_b128 v4, v[52:55]
	ds_write_b128 v4, v[48:51] offset:400
	ds_write_b128 v4, v[56:59] offset:800
	;; [unrolled: 1-line block ×4, first 2 shown]
	v_lshl_add_u64 v[52:53], v[80:81], 0, s[16:17]
	v_accvgpr_write_b32 a64, v60
	v_cndmask_b32_e64 v61, v53, 0, vcc
	v_cndmask_b32_e32 v60, v52, v80, vcc
	v_lshlrev_b64 v[52:53], 5, v[60:61]
	v_lshl_add_u64 v[52:53], s[6:7], 0, v[52:53]
	v_accvgpr_write_b32 a65, v8
	v_accvgpr_write_b32 a66, v4
	s_waitcnt lgkmcnt(0)
	s_barrier
	ds_read_b128 v[16:19], v134
	ds_read_b128 v[54:57], v134 offset:18000
	ds_read_b128 v[64:67], v134 offset:36000
	;; [unrolled: 1-line block ×14, first 2 shown]
	global_load_dwordx4 v[108:111], v[52:53], off offset:1936
	global_load_dwordx4 v[116:119], v[52:53], off offset:1920
	s_movk_i32 s14, 0x625
	s_mov_b32 s16, 0xe8584caa
	s_mov_b32 s17, 0x3febb67a
	v_cmp_lt_u16_e32 vcc, s18, v80
	s_mov_b64 s[18:19], 0x1720
	s_waitcnt vmcnt(1)
	v_accvgpr_write_b32 a68, v108
	s_waitcnt vmcnt(0) lgkmcnt(13)
	v_mul_f64 v[52:53], v[56:57], v[118:119]
	v_fma_f64 v[52:53], v[54:55], v[116:117], -v[52:53]
	v_mul_f64 v[54:55], v[54:55], v[118:119]
	v_fmac_f64_e32 v[54:55], v[56:57], v[116:117]
	s_waitcnt lgkmcnt(12)
	v_mul_f64 v[56:57], v[66:67], v[110:111]
	v_fma_f64 v[62:63], v[64:65], v[108:109], -v[56:57]
	v_mul_u32_u24_sdwa v56, v74, s14 dst_sel:DWORD dst_unused:UNUSED_PAD src0_sel:WORD_0 src1_sel:DWORD
	v_sub_u16_sdwa v57, v74, v56 dst_sel:DWORD dst_unused:UNUSED_PAD src0_sel:DWORD src1_sel:WORD_1
	v_lshrrev_b16_e32 v57, 1, v57
	v_add_u16_sdwa v56, v57, v56 dst_sel:DWORD dst_unused:UNUSED_PAD src0_sel:DWORD src1_sel:WORD_1
	v_lshrrev_b16_e32 v71, 6, v56
	v_mul_lo_u16_e32 v56, 0x7d, v71
	v_sub_u16_e32 v93, v74, v56
	v_lshlrev_b16_e32 v56, 5, v93
	v_mov_b32_e32 v57, v135
	v_accvgpr_write_b32 a72, v116
	v_mul_f64 v[64:65], v[64:65], v[110:111]
	v_lshl_add_u64 v[56:57], s[6:7], 0, v[56:57]
	v_accvgpr_write_b32 a73, v117
	v_accvgpr_write_b32 a74, v118
	;; [unrolled: 1-line block ×3, first 2 shown]
	v_fmac_f64_e32 v[64:65], v[66:67], v[108:109]
	v_accvgpr_write_b32 a69, v109
	v_accvgpr_write_b32 a70, v110
	;; [unrolled: 1-line block ×3, first 2 shown]
	global_load_dwordx4 v[108:111], v[56:57], off offset:1936
	global_load_dwordx4 v[116:119], v[56:57], off offset:1920
	s_waitcnt vmcnt(0) lgkmcnt(10)
	v_mul_f64 v[56:57], v[50:51], v[118:119]
	v_fma_f64 v[66:67], v[48:49], v[116:117], -v[56:57]
	v_mov_b64_e32 v[56:57], v[108:109]
	v_mov_b64_e32 v[58:59], v[110:111]
	v_mul_f64 v[94:95], v[48:49], v[118:119]
	s_waitcnt lgkmcnt(9)
	v_mul_f64 v[48:49], v[46:47], v[58:59]
	v_fma_f64 v[108:109], v[44:45], v[56:57], -v[48:49]
	v_mul_f64 v[110:111], v[44:45], v[58:59]
	v_mul_u32_u24_sdwa v44, v92, s14 dst_sel:DWORD dst_unused:UNUSED_PAD src0_sel:WORD_0 src1_sel:DWORD
	v_sub_u16_sdwa v45, v92, v44 dst_sel:DWORD dst_unused:UNUSED_PAD src0_sel:DWORD src1_sel:WORD_1
	v_lshrrev_b16_e32 v45, 1, v45
	v_add_u16_sdwa v44, v45, v44 dst_sel:DWORD dst_unused:UNUSED_PAD src0_sel:DWORD src1_sel:WORD_1
	v_lshrrev_b16_e32 v61, 6, v44
	v_mul_lo_u16_e32 v44, 0x7d, v61
	v_sub_u16_e32 v73, v92, v44
	v_lshlrev_b16_e32 v44, 5, v73
	v_mov_b32_e32 v45, v135
	v_accvgpr_write_b32 a79, v59
	v_lshl_add_u64 v[44:45], s[6:7], 0, v[44:45]
	v_fmac_f64_e32 v[110:111], v[46:47], v[56:57]
	v_accvgpr_write_b32 a78, v58
	v_accvgpr_write_b32 a77, v57
	;; [unrolled: 1-line block ×3, first 2 shown]
	global_load_dwordx4 v[46:49], v[44:45], off offset:1936
	global_load_dwordx4 v[56:59], v[44:45], off offset:1920
	v_accvgpr_write_b32 a80, v116
	v_accvgpr_write_b32 a81, v117
	;; [unrolled: 1-line block ×4, first 2 shown]
	v_fmac_f64_e32 v[94:95], v[50:51], v[116:117]
	s_waitcnt vmcnt(1) lgkmcnt(6)
	v_mul_f64 v[132:133], v[36:37], v[48:49]
	s_waitcnt vmcnt(0)
	v_mul_f64 v[44:45], v[42:43], v[58:59]
	v_fma_f64 v[120:121], v[40:41], v[56:57], -v[44:45]
	v_mul_f64 v[122:123], v[40:41], v[58:59]
	v_mul_f64 v[40:41], v[38:39], v[48:49]
	v_fma_f64 v[130:131], v[36:37], v[46:47], -v[40:41]
	v_mul_u32_u24_sdwa v36, v70, s14 dst_sel:DWORD dst_unused:UNUSED_PAD src0_sel:WORD_0 src1_sel:DWORD
	v_sub_u16_sdwa v37, v70, v36 dst_sel:DWORD dst_unused:UNUSED_PAD src0_sel:DWORD src1_sel:WORD_1
	v_lshrrev_b16_e32 v37, 1, v37
	v_add_u16_sdwa v36, v37, v36 dst_sel:DWORD dst_unused:UNUSED_PAD src0_sel:DWORD src1_sel:WORD_1
	v_lshrrev_b16_e32 v118, 6, v36
	v_mul_lo_u16_e32 v36, 0x7d, v118
	v_sub_u16_e32 v119, v70, v36
	v_lshlrev_b16_e32 v36, 5, v119
	v_mov_b32_e32 v37, v135
	v_lshl_add_u64 v[36:37], s[6:7], 0, v[36:37]
	v_fmac_f64_e32 v[122:123], v[42:43], v[56:57]
	v_fmac_f64_e32 v[132:133], v[38:39], v[46:47]
	global_load_dwordx4 v[38:41], v[36:37], off offset:1936
	global_load_dwordx4 v[42:45], v[36:37], off offset:1920
	v_accvgpr_write_b32 a87, v59
	v_accvgpr_write_b32 a86, v58
	;; [unrolled: 1-line block ×8, first 2 shown]
	s_waitcnt vmcnt(1) lgkmcnt(3)
	v_mul_f64 v[202:203], v[28:29], v[40:41]
	s_waitcnt vmcnt(0)
	v_mul_f64 v[36:37], v[34:35], v[44:45]
	v_fma_f64 v[196:197], v[32:33], v[42:43], -v[36:37]
	v_mul_f64 v[198:199], v[32:33], v[44:45]
	v_mul_f64 v[32:33], v[30:31], v[40:41]
	v_fma_f64 v[200:201], v[28:29], v[38:39], -v[32:33]
	v_mul_u32_u24_sdwa v28, v72, s14 dst_sel:DWORD dst_unused:UNUSED_PAD src0_sel:WORD_0 src1_sel:DWORD
	v_sub_u16_sdwa v29, v72, v28 dst_sel:DWORD dst_unused:UNUSED_PAD src0_sel:DWORD src1_sel:WORD_1
	v_lshrrev_b16_e32 v29, 1, v29
	v_add_u16_sdwa v28, v29, v28 dst_sel:DWORD dst_unused:UNUSED_PAD src0_sel:DWORD src1_sel:WORD_1
	v_lshrrev_b16_e32 v116, 6, v28
	v_mul_lo_u16_e32 v28, 0x7d, v116
	v_sub_u16_e32 v117, v72, v28
	v_lshlrev_b16_e32 v28, 5, v117
	v_mov_b32_e32 v29, v135
	v_lshl_add_u64 v[28:29], s[6:7], 0, v[28:29]
	v_fmac_f64_e32 v[198:199], v[34:35], v[42:43]
	v_fmac_f64_e32 v[202:203], v[30:31], v[38:39]
	global_load_dwordx4 v[30:33], v[28:29], off offset:1936
	global_load_dwordx4 v[34:37], v[28:29], off offset:1920
	s_mov_b32 s14, s16
	v_accvgpr_write_b32 a99, v45
	v_accvgpr_write_b32 a98, v44
	;; [unrolled: 1-line block ×8, first 2 shown]
	s_waitcnt lgkmcnt(0)
	s_barrier
	s_waitcnt vmcnt(1)
	v_mul_f64 v[210:211], v[20:21], v[32:33]
	s_waitcnt vmcnt(0)
	v_mul_f64 v[28:29], v[26:27], v[36:37]
	v_fma_f64 v[204:205], v[24:25], v[34:35], -v[28:29]
	v_mul_f64 v[206:207], v[24:25], v[36:37]
	v_mul_f64 v[24:25], v[22:23], v[32:33]
	v_fma_f64 v[208:209], v[20:21], v[30:31], -v[24:25]
	v_add_f64 v[20:21], v[16:17], v[52:53]
	v_add_f64 v[56:57], v[20:21], v[62:63]
	v_add_f64 v[20:21], v[52:53], v[62:63]
	v_fmac_f64_e32 v[16:17], -0.5, v[20:21]
	v_add_f64 v[20:21], v[54:55], -v[64:65]
	v_fma_f64 v[48:49], s[16:17], v[20:21], v[16:17]
	v_fmac_f64_e32 v[16:17], s[14:15], v[20:21]
	v_add_f64 v[20:21], v[18:19], v[54:55]
	v_add_f64 v[58:59], v[20:21], v[64:65]
	v_add_f64 v[20:21], v[54:55], v[64:65]
	v_fmac_f64_e32 v[18:19], -0.5, v[20:21]
	v_add_f64 v[20:21], v[52:53], -v[62:63]
	v_fma_f64 v[50:51], s[14:15], v[20:21], v[18:19]
	v_fmac_f64_e32 v[18:19], s[16:17], v[20:21]
	;; [unrolled: 7-line block ×4, first 2 shown]
	v_add_f64 v[20:21], v[8:9], v[120:121]
	v_add_f64 v[40:41], v[20:21], v[130:131]
	;; [unrolled: 1-line block ×3, first 2 shown]
	v_accvgpr_write_b32 a107, v37
	v_fmac_f64_e32 v[8:9], -0.5, v[20:21]
	v_add_f64 v[20:21], v[122:123], -v[132:133]
	v_accvgpr_write_b32 a106, v36
	v_accvgpr_write_b32 a105, v35
	;; [unrolled: 1-line block ×3, first 2 shown]
	v_fma_f64 v[36:37], s[16:17], v[20:21], v[8:9]
	v_fmac_f64_e32 v[8:9], s[14:15], v[20:21]
	v_add_f64 v[20:21], v[10:11], v[122:123]
	v_add_f64 v[42:43], v[20:21], v[132:133]
	;; [unrolled: 1-line block ×3, first 2 shown]
	v_fmac_f64_e32 v[10:11], -0.5, v[20:21]
	v_add_f64 v[20:21], v[120:121], -v[130:131]
	v_accvgpr_write_b32 a111, v33
	v_fma_f64 v[38:39], s[14:15], v[20:21], v[10:11]
	v_fmac_f64_e32 v[10:11], s[16:17], v[20:21]
	v_add_f64 v[20:21], v[4:5], v[196:197]
	v_accvgpr_write_b32 a110, v32
	v_accvgpr_write_b32 a109, v31
	;; [unrolled: 1-line block ×3, first 2 shown]
	v_add_f64 v[32:33], v[20:21], v[200:201]
	v_add_f64 v[20:21], v[196:197], v[200:201]
	v_fmac_f64_e32 v[4:5], -0.5, v[20:21]
	v_add_f64 v[20:21], v[198:199], -v[202:203]
	v_fma_f64 v[28:29], s[16:17], v[20:21], v[4:5]
	v_fmac_f64_e32 v[4:5], s[14:15], v[20:21]
	v_add_f64 v[20:21], v[6:7], v[198:199]
	v_fmac_f64_e32 v[206:207], v[26:27], v[34:35]
	v_add_f64 v[34:35], v[20:21], v[202:203]
	v_add_f64 v[20:21], v[198:199], v[202:203]
	v_fmac_f64_e32 v[6:7], -0.5, v[20:21]
	v_add_f64 v[20:21], v[196:197], -v[200:201]
	v_fmac_f64_e32 v[210:211], v[22:23], v[30:31]
	v_fma_f64 v[30:31], s[14:15], v[20:21], v[6:7]
	v_fmac_f64_e32 v[6:7], s[16:17], v[20:21]
	v_add_f64 v[20:21], v[0:1], v[204:205]
	v_add_f64 v[24:25], v[20:21], v[208:209]
	;; [unrolled: 1-line block ×3, first 2 shown]
	v_fmac_f64_e32 v[0:1], -0.5, v[20:21]
	v_add_f64 v[22:23], v[206:207], -v[210:211]
	v_fma_f64 v[20:21], s[16:17], v[22:23], v[0:1]
	v_fmac_f64_e32 v[0:1], s[14:15], v[22:23]
	v_add_f64 v[22:23], v[2:3], v[206:207]
	v_add_f64 v[26:27], v[22:23], v[210:211]
	v_add_f64 v[22:23], v[206:207], v[210:211]
	v_fmac_f64_e32 v[2:3], -0.5, v[22:23]
	v_add_f64 v[62:63], v[204:205], -v[208:209]
	v_fma_f64 v[22:23], s[14:15], v[62:63], v[2:3]
	v_fmac_f64_e32 v[2:3], s[16:17], v[62:63]
	v_mov_b32_e32 v62, 0x177
	v_cndmask_b32_e32 v62, 0, v62, vcc
	v_add_lshl_u32 v60, v60, v62, 4
	ds_write_b128 v60, v[56:59]
	ds_write_b128 v60, v[48:51] offset:2000
	ds_write_b128 v60, v[16:19] offset:4000
	v_mad_legacy_u16 v16, v71, s23, v93
	v_lshlrev_b32_e32 v16, 4, v16
	ds_write_b128 v16, v[52:55]
	ds_write_b128 v16, v[44:47] offset:2000
	ds_write_b128 v16, v[12:15] offset:4000
	v_mad_legacy_u16 v12, v61, s23, v73
	v_lshlrev_b32_e32 v12, 4, v12
	;; [unrolled: 5-line block ×3, first 2 shown]
	v_mov_b32_e32 v53, v135
	v_accvgpr_write_b32 a115, v60
	v_lshlrev_b32_e32 v8, 4, v8
	v_lshl_add_u64 v[60:61], s[6:7], 0, v[52:53]
	ds_write_b128 v8, v[32:35]
	ds_write_b128 v8, v[28:31] offset:2000
	ds_write_b128 v8, v[4:7] offset:4000
	v_mad_legacy_u16 v4, v116, s23, v117
	v_add_co_u32_e32 v54, vcc, s22, v60
	v_lshlrev_b32_e32 v4, 4, v4
	s_nop 0
	v_addc_co_u32_e32 v55, vcc, 0, v61, vcc
	v_accvgpr_write_b32 a116, v16
	v_accvgpr_write_b32 a117, v12
	;; [unrolled: 1-line block ×3, first 2 shown]
	ds_write_b128 v4, v[24:27]
	ds_write_b128 v4, v[20:23] offset:2000
	ds_write_b128 v4, v[0:3] offset:4000
	v_accvgpr_write_b32 a119, v4
	s_waitcnt lgkmcnt(0)
	s_barrier
	ds_read_b128 v[16:19], v134
	ds_read_b128 v[56:59], v134 offset:18000
	ds_read_b128 v[108:111], v134 offset:36000
	;; [unrolled: 1-line block ×14, first 2 shown]
	v_lshl_add_u64 v[52:53], v[60:61], 0, s[18:19]
	global_load_dwordx4 v[200:203], v[54:55], off offset:1824
	global_load_dwordx4 v[196:199], v[52:53], off offset:16
	s_waitcnt vmcnt(1) lgkmcnt(13)
	v_mul_f64 v[52:53], v[58:59], v[202:203]
	v_fma_f64 v[54:55], v[56:57], v[200:201], -v[52:53]
	s_waitcnt vmcnt(0) lgkmcnt(12)
	v_mul_f64 v[52:53], v[110:111], v[198:199]
	v_fma_f64 v[66:67], v[108:109], v[196:197], -v[52:53]
	v_lshl_add_u64 v[52:53], v[80:81], 0, s[24:25]
	s_movk_i32 s24, 0x96
	v_cmp_gt_u16_e32 vcc, s24, v80
	v_mul_f64 v[64:65], v[56:57], v[202:203]
	v_mul_f64 v[94:95], v[108:109], v[198:199]
	v_cndmask_b32_e32 v63, v53, v75, vcc
	v_cndmask_b32_e32 v62, v52, v74, vcc
	v_lshlrev_b64 v[52:53], 5, v[62:63]
	v_lshl_add_u64 v[52:53], s[6:7], 0, v[52:53]
	v_lshl_add_u64 v[56:57], v[52:53], 0, s[18:19]
	v_add_co_u32_e32 v52, vcc, s22, v52
	v_fmac_f64_e32 v[94:95], v[110:111], v[196:197]
	s_nop 0
	v_addc_co_u32_e32 v53, vcc, 0, v53, vcc
	global_load_dwordx4 v[208:211], v[52:53], off offset:1824
	global_load_dwordx4 v[204:207], v[56:57], off offset:16
	s_mov_b64 s[24:25], 0x2080
	v_fmac_f64_e32 v[64:65], v[58:59], v[200:201]
	s_waitcnt vmcnt(1) lgkmcnt(10)
	v_mul_f64 v[52:53], v[50:51], v[210:211]
	s_waitcnt vmcnt(0) lgkmcnt(9)
	v_mul_f64 v[118:119], v[44:45], v[206:207]
	v_fma_f64 v[108:109], v[48:49], v[208:209], -v[52:53]
	v_mul_f64 v[110:111], v[48:49], v[210:211]
	v_mul_f64 v[48:49], v[46:47], v[206:207]
	v_fmac_f64_e32 v[118:119], v[46:47], v[204:205]
	v_add_co_u32_e32 v46, vcc, s21, v60
	v_fma_f64 v[116:117], v[44:45], v[204:205], -v[48:49]
	s_nop 0
	v_addc_co_u32_e32 v47, vcc, 0, v61, vcc
	v_lshl_add_u64 v[44:45], v[60:61], 0, s[24:25]
	global_load_dwordx4 v[216:219], v[46:47], off offset:128
	global_load_dwordx4 v[212:215], v[44:45], off offset:16
	s_movk_i32 s21, 0x5d87
	v_fmac_f64_e32 v[110:111], v[50:51], v[208:209]
	s_waitcnt vmcnt(1) lgkmcnt(7)
	v_mul_f64 v[44:45], v[42:43], v[218:219]
	v_fma_f64 v[120:121], v[40:41], v[216:217], -v[44:45]
	v_mul_f64 v[122:123], v[40:41], v[218:219]
	s_waitcnt vmcnt(0) lgkmcnt(6)
	v_mul_f64 v[40:41], v[38:39], v[214:215]
	v_fma_f64 v[130:131], v[36:37], v[212:213], -v[40:41]
	v_mul_f64 v[132:133], v[36:37], v[214:215]
	v_mul_u32_u24_sdwa v36, v70, s21 dst_sel:DWORD dst_unused:UNUSED_PAD src0_sel:WORD_0 src1_sel:DWORD
	v_sub_u16_sdwa v37, v70, v36 dst_sel:DWORD dst_unused:UNUSED_PAD src0_sel:DWORD src1_sel:WORD_1
	v_lshrrev_b16_e32 v37, 1, v37
	v_add_u16_sdwa v36, v37, v36 dst_sel:DWORD dst_unused:UNUSED_PAD src0_sel:DWORD src1_sel:WORD_1
	v_lshrrev_b16_e32 v71, 8, v36
	v_mul_lo_u16_e32 v36, 0x177, v71
	v_sub_u16_e32 v73, v70, v36
	v_lshlrev_b16_e32 v36, 5, v73
	v_mov_b32_e32 v37, v135
	v_lshl_add_u64 v[36:37], s[6:7], 0, v[36:37]
	v_fmac_f64_e32 v[132:133], v[38:39], v[212:213]
	v_lshl_add_u64 v[38:39], v[36:37], 0, s[18:19]
	v_add_co_u32_e32 v36, vcc, s22, v36
	v_fmac_f64_e32 v[122:123], v[42:43], v[216:217]
	s_nop 0
	v_addc_co_u32_e32 v37, vcc, 0, v37, vcc
	global_load_dwordx4 v[224:227], v[36:37], off offset:1824
	global_load_dwordx4 v[220:223], v[38:39], off offset:16
	s_waitcnt vmcnt(1) lgkmcnt(4)
	v_mul_f64 v[36:37], v[34:35], v[226:227]
	v_fma_f64 v[236:237], v[32:33], v[224:225], -v[36:37]
	v_mul_f64 v[238:239], v[32:33], v[226:227]
	s_waitcnt vmcnt(0) lgkmcnt(3)
	v_mul_f64 v[32:33], v[30:31], v[222:223]
	v_fma_f64 v[240:241], v[28:29], v[220:221], -v[32:33]
	v_mul_f64 v[242:243], v[28:29], v[222:223]
	v_mul_u32_u24_sdwa v28, v72, s21 dst_sel:DWORD dst_unused:UNUSED_PAD src0_sel:WORD_0 src1_sel:DWORD
	v_sub_u16_sdwa v29, v72, v28 dst_sel:DWORD dst_unused:UNUSED_PAD src0_sel:DWORD src1_sel:WORD_1
	v_lshrrev_b16_e32 v29, 1, v29
	v_add_u16_sdwa v28, v29, v28 dst_sel:DWORD dst_unused:UNUSED_PAD src0_sel:DWORD src1_sel:WORD_1
	v_mul_lo_u16_sdwa v28, v28, s23 dst_sel:DWORD dst_unused:UNUSED_PAD src0_sel:BYTE_1 src1_sel:DWORD
	v_sub_u16_e32 v63, v72, v28
	v_lshlrev_b16_e32 v28, 5, v63
	v_mov_b32_e32 v29, v135
	v_lshl_add_u64 v[28:29], s[6:7], 0, v[28:29]
	v_fmac_f64_e32 v[242:243], v[30:31], v[220:221]
	v_lshl_add_u64 v[30:31], v[28:29], 0, s[18:19]
	v_add_co_u32_e32 v28, vcc, s22, v28
	v_fmac_f64_e32 v[238:239], v[34:35], v[224:225]
	s_nop 0
	v_addc_co_u32_e32 v29, vcc, 0, v29, vcc
	global_load_dwordx4 v[232:235], v[28:29], off offset:1824
	global_load_dwordx4 v[228:231], v[30:31], off offset:16
	s_movk_i32 s18, 0x95
	s_waitcnt lgkmcnt(0)
	s_barrier
	v_cmp_lt_u16_e32 vcc, s18, v80
	s_movk_i32 s18, 0x465
	v_lshlrev_b32_e32 v81, 4, v63
	s_waitcnt vmcnt(1)
	v_mul_f64 v[28:29], v[26:27], v[234:235]
	v_fma_f64 v[244:245], v[24:25], v[232:233], -v[28:29]
	v_mul_f64 v[246:247], v[24:25], v[234:235]
	s_waitcnt vmcnt(0)
	v_mul_f64 v[24:25], v[22:23], v[230:231]
	v_fma_f64 v[248:249], v[20:21], v[228:229], -v[24:25]
	v_mul_f64 v[250:251], v[20:21], v[230:231]
	v_add_f64 v[20:21], v[16:17], v[54:55]
	v_add_f64 v[56:57], v[20:21], v[66:67]
	v_add_f64 v[20:21], v[54:55], v[66:67]
	v_fmac_f64_e32 v[16:17], -0.5, v[20:21]
	v_add_f64 v[20:21], v[64:65], -v[94:95]
	v_fma_f64 v[52:53], s[16:17], v[20:21], v[16:17]
	v_fmac_f64_e32 v[16:17], s[14:15], v[20:21]
	v_add_f64 v[20:21], v[18:19], v[64:65]
	v_add_f64 v[58:59], v[20:21], v[94:95]
	v_add_f64 v[20:21], v[64:65], v[94:95]
	v_fmac_f64_e32 v[18:19], -0.5, v[20:21]
	v_add_f64 v[20:21], v[54:55], -v[66:67]
	v_fma_f64 v[54:55], s[14:15], v[20:21], v[18:19]
	v_fmac_f64_e32 v[18:19], s[16:17], v[20:21]
	;; [unrolled: 7-line block ×8, first 2 shown]
	v_add_f64 v[20:21], v[0:1], v[244:245]
	v_fmac_f64_e32 v[246:247], v[26:27], v[232:233]
	v_fmac_f64_e32 v[250:251], v[22:23], v[228:229]
	v_add_f64 v[24:25], v[20:21], v[248:249]
	v_add_f64 v[20:21], v[244:245], v[248:249]
	ds_write_b128 v134, v[56:59]
	ds_write_b128 v134, v[52:55] offset:6000
	ds_write_b128 v134, v[16:19] offset:12000
	v_mov_b32_e32 v16, 0x465
	v_fmac_f64_e32 v[0:1], -0.5, v[20:21]
	v_add_f64 v[22:23], v[246:247], -v[250:251]
	v_cndmask_b32_e32 v16, 0, v16, vcc
	v_fma_f64 v[20:21], s[16:17], v[22:23], v[0:1]
	v_fmac_f64_e32 v[0:1], s[14:15], v[22:23]
	v_add_f64 v[22:23], v[2:3], v[246:247]
	v_add_lshl_u32 v16, v62, v16, 4
	v_add_f64 v[26:27], v[22:23], v[250:251]
	v_add_f64 v[22:23], v[246:247], v[250:251]
	ds_write_b128 v16, v[48:51]
	ds_write_b128 v16, v[44:47] offset:6000
	ds_write_b128 v16, v[12:15] offset:12000
	;; [unrolled: 1-line block ×5, first 2 shown]
	v_mad_legacy_u16 v8, v71, s18, v73
	s_mov_b64 s[18:19], 0x4600
	v_fmac_f64_e32 v[2:3], -0.5, v[22:23]
	v_add_f64 v[64:65], v[244:245], -v[248:249]
	v_lshl_add_u64 v[62:63], v[60:61], 0, s[18:19]
	v_add_co_u32_e32 v60, vcc, s20, v60
	v_fma_f64 v[22:23], s[14:15], v[64:65], v[2:3]
	v_fmac_f64_e32 v[2:3], s[16:17], v[64:65]
	v_lshlrev_b32_e32 v8, 4, v8
	v_addc_co_u32_e32 v61, vcc, 0, v61, vcc
	v_accvgpr_write_b32 a120, v16
	ds_write_b128 v8, v[32:35]
	ds_write_b128 v8, v[28:31] offset:6000
	ds_write_b128 v8, v[4:7] offset:12000
	v_accvgpr_write_b32 a121, v8
	ds_write_b128 v81, v[24:27] offset:36000
	ds_write_b128 v81, v[20:23] offset:42000
	;; [unrolled: 1-line block ×3, first 2 shown]
	s_waitcnt lgkmcnt(0)
	s_barrier
	ds_read_b128 v[16:19], v134
	ds_read_b128 v[52:55], v134 offset:18000
	ds_read_b128 v[56:59], v134 offset:36000
	;; [unrolled: 1-line block ×14, first 2 shown]
	global_load_dwordx4 v[240:243], v[60:61], off offset:1536
	global_load_dwordx4 v[236:239], v[62:63], off offset:16
	s_waitcnt vmcnt(1) lgkmcnt(13)
	v_mul_f64 v[60:61], v[54:55], v[242:243]
	v_fma_f64 v[60:61], v[52:53], v[240:241], -v[60:61]
	v_mul_f64 v[62:63], v[52:53], v[242:243]
	s_waitcnt vmcnt(0) lgkmcnt(12)
	v_mul_f64 v[52:53], v[58:59], v[238:239]
	v_fmac_f64_e32 v[62:63], v[54:55], v[240:241]
	v_fma_f64 v[54:55], v[56:57], v[236:237], -v[52:53]
	v_lshlrev_b32_e32 v52, 5, v74
	v_mov_b32_e32 v53, v135
	v_lshl_add_u64 v[52:53], s[6:7], 0, v[52:53]
	v_mul_f64 v[64:65], v[56:57], v[238:239]
	v_lshl_add_u64 v[56:57], v[52:53], 0, s[18:19]
	v_add_co_u32_e32 v52, vcc, s20, v52
	v_fmac_f64_e32 v[64:65], v[58:59], v[236:237]
	s_nop 0
	v_addc_co_u32_e32 v53, vcc, 0, v53, vcc
	global_load_dwordx4 v[248:251], v[52:53], off offset:1536
	global_load_dwordx4 v[244:247], v[56:57], off offset:16
	s_waitcnt vmcnt(1) lgkmcnt(10)
	v_mul_f64 v[52:53], v[50:51], v[250:251]
	v_fma_f64 v[66:67], v[48:49], v[248:249], -v[52:53]
	v_mul_f64 v[74:75], v[48:49], v[250:251]
	s_waitcnt vmcnt(0) lgkmcnt(9)
	v_mul_f64 v[48:49], v[46:47], v[246:247]
	v_fmac_f64_e32 v[74:75], v[50:51], v[248:249]
	v_fma_f64 v[48:49], v[44:45], v[244:245], -v[48:49]
	v_mul_f64 v[50:51], v[44:45], v[246:247]
	v_lshlrev_b32_e32 v44, 5, v92
	v_mov_b32_e32 v45, v135
	v_lshl_add_u64 v[44:45], s[6:7], 0, v[44:45]
	v_fmac_f64_e32 v[50:51], v[46:47], v[244:245]
	v_lshl_add_u64 v[46:47], v[44:45], 0, s[18:19]
	v_add_co_u32_e32 v44, vcc, s20, v44
	s_nop 1
	v_addc_co_u32_e32 v45, vcc, 0, v45, vcc
	global_load_dwordx4 v[130:133], v[44:45], off offset:1536
	global_load_dwordx4 v[252:255], v[46:47], off offset:16
	s_waitcnt vmcnt(1) lgkmcnt(7)
	v_mul_f64 v[44:45], v[42:43], v[132:133]
	v_fma_f64 v[44:45], v[40:41], v[130:131], -v[44:45]
	v_mul_f64 v[40:41], v[40:41], v[132:133]
	v_fmac_f64_e32 v[40:41], v[42:43], v[130:131]
	s_waitcnt vmcnt(0) lgkmcnt(6)
	v_mul_f64 v[42:43], v[38:39], v[254:255]
	v_fma_f64 v[42:43], v[36:37], v[252:253], -v[42:43]
	v_mul_f64 v[36:37], v[36:37], v[254:255]
	v_fmac_f64_e32 v[36:37], v[38:39], v[252:253]
	v_lshlrev_b32_e32 v38, 5, v70
	v_mov_b32_e32 v39, v135
	v_lshl_add_u64 v[38:39], s[6:7], 0, v[38:39]
	v_lshl_add_u64 v[46:47], v[38:39], 0, s[18:19]
	v_add_co_u32_e32 v38, vcc, s20, v38
	s_nop 1
	v_addc_co_u32_e32 v39, vcc, 0, v39, vcc
	global_load_dwordx4 v[116:119], v[38:39], off offset:1536
	global_load_dwordx4 v[120:123], v[46:47], off offset:16
	s_waitcnt vmcnt(1) lgkmcnt(4)
	v_mul_f64 v[38:39], v[34:35], v[118:119]
	v_fma_f64 v[70:71], v[32:33], v[116:117], -v[38:39]
	v_mul_f64 v[32:33], v[32:33], v[118:119]
	v_fmac_f64_e32 v[32:33], v[34:35], v[116:117]
	s_waitcnt vmcnt(0) lgkmcnt(3)
	v_mul_f64 v[34:35], v[30:31], v[122:123]
	v_fma_f64 v[34:35], v[28:29], v[120:121], -v[34:35]
	v_mul_f64 v[28:29], v[28:29], v[122:123]
	v_fmac_f64_e32 v[28:29], v[30:31], v[120:121]
	v_lshlrev_b32_e32 v30, 5, v72
	v_mov_b32_e32 v31, v135
	v_lshl_add_u64 v[30:31], s[6:7], 0, v[30:31]
	v_lshl_add_u64 v[38:39], v[30:31], 0, s[18:19]
	v_add_co_u32_e32 v30, vcc, s20, v30
	s_mov_b64 s[6:7], 0xd2f0
	s_nop 0
	v_addc_co_u32_e32 v31, vcc, 0, v31, vcc
	global_load_dwordx4 v[92:95], v[30:31], off offset:1536
	global_load_dwordx4 v[108:111], v[38:39], off offset:16
	s_waitcnt vmcnt(1) lgkmcnt(1)
	v_mul_f64 v[30:31], v[26:27], v[94:95]
	v_fma_f64 v[72:73], v[24:25], v[92:93], -v[30:31]
	v_mul_f64 v[24:25], v[24:25], v[94:95]
	v_fmac_f64_e32 v[24:25], v[26:27], v[92:93]
	s_waitcnt vmcnt(0) lgkmcnt(0)
	v_mul_f64 v[26:27], v[22:23], v[110:111]
	v_fma_f64 v[26:27], v[20:21], v[108:109], -v[26:27]
	v_mul_f64 v[128:129], v[20:21], v[110:111]
	v_add_f64 v[20:21], v[16:17], v[60:61]
	v_add_f64 v[56:57], v[20:21], v[54:55]
	v_add_f64 v[20:21], v[60:61], v[54:55]
	v_fmac_f64_e32 v[16:17], -0.5, v[20:21]
	v_add_f64 v[20:21], v[62:63], -v[64:65]
	v_fma_f64 v[52:53], s[16:17], v[20:21], v[16:17]
	v_fmac_f64_e32 v[16:17], s[14:15], v[20:21]
	v_add_f64 v[20:21], v[18:19], v[62:63]
	v_add_f64 v[58:59], v[20:21], v[64:65]
	v_add_f64 v[20:21], v[62:63], v[64:65]
	v_fmac_f64_e32 v[18:19], -0.5, v[20:21]
	v_add_f64 v[20:21], v[60:61], -v[54:55]
	v_fma_f64 v[54:55], s[14:15], v[20:21], v[18:19]
	v_fmac_f64_e32 v[18:19], s[16:17], v[20:21]
	;; [unrolled: 7-line block ×8, first 2 shown]
	v_add_f64 v[20:21], v[0:1], v[72:73]
	v_fmac_f64_e32 v[128:129], v[22:23], v[108:109]
	v_add_f64 v[34:35], v[20:21], v[26:27]
	v_add_f64 v[20:21], v[72:73], v[26:27]
	v_fmac_f64_e32 v[0:1], -0.5, v[20:21]
	v_add_f64 v[22:23], v[24:25], -v[128:129]
	v_fma_f64 v[20:21], s[16:17], v[22:23], v[0:1]
	v_fmac_f64_e32 v[0:1], s[14:15], v[22:23]
	v_add_f64 v[22:23], v[2:3], v[24:25]
	v_add_f64 v[36:37], v[22:23], v[128:129]
	;; [unrolled: 1-line block ×3, first 2 shown]
	v_fmac_f64_e32 v[2:3], -0.5, v[22:23]
	v_add_f64 v[24:25], v[72:73], -v[26:27]
	v_fma_f64 v[22:23], s[14:15], v[24:25], v[2:3]
	v_fmac_f64_e32 v[2:3], s[16:17], v[24:25]
	ds_write_b128 v134, v[56:59]
	ds_write_b128 v134, v[52:55] offset:18000
	ds_write_b128 v134, v[16:19] offset:36000
	;; [unrolled: 1-line block ×14, first 2 shown]
	v_lshl_add_u64 v[0:1], v[68:69], 0, s[6:7]
	s_mov_b32 s6, 0xd000
	v_add_co_u32_e32 v6, vcc, s6, v68
	s_waitcnt lgkmcnt(0)
	s_nop 0
	v_addc_co_u32_e32 v7, vcc, 0, v69, vcc
	s_barrier
	global_load_dwordx4 v[6:9], v[6:7], off offset:752
	ds_read_b128 v[2:5], v134
	s_mov_b32 s6, 0xf000
	s_waitcnt vmcnt(0) lgkmcnt(0)
	v_mul_f64 v[10:11], v[4:5], v[8:9]
	v_mul_f64 v[12:13], v[2:3], v[8:9]
	v_fma_f64 v[10:11], v[2:3], v[6:7], -v[10:11]
	v_fmac_f64_e32 v[12:13], v[4:5], v[6:7]
	v_add_co_u32_e32 v6, vcc, s6, v68
	ds_read_b128 v[2:5], v134 offset:10800
	s_nop 0
	v_addc_co_u32_e32 v7, vcc, 0, v69, vcc
	global_load_dwordx4 v[6:9], v[6:7], off offset:3360
	ds_write_b128 v134, v[10:13]
	s_mov_b32 s6, 0x12000
	s_waitcnt vmcnt(0) lgkmcnt(1)
	v_mul_f64 v[10:11], v[4:5], v[8:9]
	v_mul_f64 v[12:13], v[2:3], v[8:9]
	v_fma_f64 v[10:11], v[2:3], v[6:7], -v[10:11]
	v_fmac_f64_e32 v[12:13], v[4:5], v[6:7]
	v_add_co_u32_e32 v6, vcc, s6, v68
	ds_read_b128 v[2:5], v134 offset:21600
	s_nop 0
	v_addc_co_u32_e32 v7, vcc, 0, v69, vcc
	global_load_dwordx4 v[6:9], v[6:7], off offset:1872
	ds_write_b128 v134, v[10:13] offset:10800
	s_mov_b32 s6, 0x15000
	s_waitcnt vmcnt(0) lgkmcnt(1)
	v_mul_f64 v[10:11], v[4:5], v[8:9]
	v_fma_f64 v[10:11], v[2:3], v[6:7], -v[10:11]
	v_mul_f64 v[12:13], v[2:3], v[8:9]
	v_add_co_u32_e32 v2, vcc, s6, v68
	v_fmac_f64_e32 v[12:13], v[4:5], v[6:7]
	s_nop 0
	v_addc_co_u32_e32 v3, vcc, 0, v69, vcc
	ds_write_b128 v134, v[10:13] offset:21600
	global_load_dwordx4 v[8:11], v[2:3], off offset:384
	ds_read_b128 v[4:7], v134 offset:32400
	s_mov_b32 s6, 0x17000
	s_waitcnt vmcnt(0) lgkmcnt(0)
	v_mul_f64 v[12:13], v[6:7], v[10:11]
	v_mul_f64 v[14:15], v[4:5], v[10:11]
	v_fma_f64 v[12:13], v[4:5], v[8:9], -v[12:13]
	v_fmac_f64_e32 v[14:15], v[6:7], v[8:9]
	v_add_co_u32_e32 v8, vcc, s6, v68
	ds_read_b128 v[4:7], v134 offset:43200
	s_nop 0
	v_addc_co_u32_e32 v9, vcc, 0, v69, vcc
	global_load_dwordx4 v[8:11], v[8:9], off offset:2992
	ds_write_b128 v134, v[12:15] offset:32400
	s_mov_b32 s6, 0x10000
	s_waitcnt vmcnt(0) lgkmcnt(1)
	v_mul_f64 v[12:13], v[6:7], v[10:11]
	v_mul_f64 v[14:15], v[4:5], v[10:11]
	v_fma_f64 v[12:13], v[4:5], v[8:9], -v[12:13]
	v_fmac_f64_e32 v[14:15], v[6:7], v[8:9]
	global_load_dwordx4 v[8:11], v[0:1], off offset:3600
	ds_read_b128 v[4:7], v134 offset:3600
	ds_write_b128 v134, v[12:15] offset:43200
	s_waitcnt vmcnt(0) lgkmcnt(1)
	v_mul_f64 v[0:1], v[6:7], v[10:11]
	v_fma_f64 v[12:13], v[4:5], v[8:9], -v[0:1]
	v_add_co_u32_e32 v0, vcc, s6, v68
	v_mul_f64 v[14:15], v[4:5], v[10:11]
	s_nop 0
	v_addc_co_u32_e32 v1, vcc, 0, v69, vcc
	v_fmac_f64_e32 v[14:15], v[6:7], v[8:9]
	global_load_dwordx4 v[8:11], v[0:1], off offset:2864
	ds_read_b128 v[4:7], v134 offset:14400
	s_mov_b32 s6, 0x13000
	ds_write_b128 v134, v[12:15] offset:3600
	s_waitcnt vmcnt(0) lgkmcnt(1)
	v_mul_f64 v[0:1], v[6:7], v[10:11]
	v_fma_f64 v[12:13], v[4:5], v[8:9], -v[0:1]
	v_add_co_u32_e32 v0, vcc, s6, v68
	v_mul_f64 v[14:15], v[4:5], v[10:11]
	s_nop 0
	v_addc_co_u32_e32 v1, vcc, 0, v69, vcc
	v_fmac_f64_e32 v[14:15], v[6:7], v[8:9]
	global_load_dwordx4 v[8:11], v[0:1], off offset:1376
	ds_read_b128 v[4:7], v134 offset:25200
	ds_write_b128 v134, v[12:15] offset:14400
	s_mov_b32 s6, 0x18000
	s_waitcnt vmcnt(0) lgkmcnt(1)
	v_mul_f64 v[0:1], v[6:7], v[10:11]
	v_fma_f64 v[12:13], v[4:5], v[8:9], -v[0:1]
	global_load_dwordx4 v[0:3], v[2:3], off offset:3984
	v_mul_f64 v[14:15], v[4:5], v[10:11]
	v_fmac_f64_e32 v[14:15], v[6:7], v[8:9]
	ds_read_b128 v[4:7], v134 offset:36000
	ds_write_b128 v134, v[12:15] offset:25200
	s_waitcnt vmcnt(0) lgkmcnt(1)
	v_mul_f64 v[8:9], v[6:7], v[2:3]
	v_fma_f64 v[8:9], v[4:5], v[0:1], -v[8:9]
	v_mul_f64 v[10:11], v[4:5], v[2:3]
	v_add_co_u32_e32 v4, vcc, s6, v68
	v_fmac_f64_e32 v[10:11], v[6:7], v[0:1]
	s_nop 0
	v_addc_co_u32_e32 v5, vcc, 0, v69, vcc
	global_load_dwordx4 v[4:7], v[4:5], off offset:2496
	ds_read_b128 v[0:3], v134 offset:46800
	ds_write_b128 v134, v[8:11] offset:36000
	s_mov_b32 s6, 0xe000
	s_waitcnt vmcnt(0) lgkmcnt(1)
	v_mul_f64 v[8:9], v[2:3], v[6:7]
	v_mul_f64 v[10:11], v[0:1], v[6:7]
	v_fma_f64 v[8:9], v[0:1], v[4:5], -v[8:9]
	v_fmac_f64_e32 v[10:11], v[2:3], v[4:5]
	v_add_co_u32_e32 v4, vcc, s6, v68
	ds_read_b128 v[0:3], v134 offset:7200
	s_nop 0
	v_addc_co_u32_e32 v5, vcc, 0, v69, vcc
	global_load_dwordx4 v[4:7], v[4:5], off offset:3856
	ds_write_b128 v134, v[8:11] offset:46800
	s_mov_b32 s6, 0x11000
	s_waitcnt vmcnt(0) lgkmcnt(1)
	v_mul_f64 v[8:9], v[2:3], v[6:7]
	v_mul_f64 v[10:11], v[0:1], v[6:7]
	v_fma_f64 v[8:9], v[0:1], v[4:5], -v[8:9]
	v_fmac_f64_e32 v[10:11], v[2:3], v[4:5]
	v_add_co_u32_e32 v4, vcc, s6, v68
	ds_read_b128 v[0:3], v134 offset:18000
	s_nop 0
	v_addc_co_u32_e32 v5, vcc, 0, v69, vcc
	global_load_dwordx4 v[4:7], v[4:5], off offset:2368
	ds_write_b128 v134, v[8:11] offset:7200
	s_mov_b32 s6, 0x14000
	s_waitcnt vmcnt(0) lgkmcnt(1)
	v_mul_f64 v[8:9], v[2:3], v[6:7]
	v_mul_f64 v[10:11], v[0:1], v[6:7]
	v_fma_f64 v[8:9], v[0:1], v[4:5], -v[8:9]
	v_fmac_f64_e32 v[10:11], v[2:3], v[4:5]
	v_add_co_u32_e32 v4, vcc, s6, v68
	ds_read_b128 v[0:3], v134 offset:28800
	s_nop 0
	v_addc_co_u32_e32 v5, vcc, 0, v69, vcc
	global_load_dwordx4 v[4:7], v[4:5], off offset:880
	ds_write_b128 v134, v[8:11] offset:18000
	s_mov_b32 s6, 0x16000
	s_waitcnt vmcnt(0) lgkmcnt(1)
	v_mul_f64 v[8:9], v[2:3], v[6:7]
	v_mul_f64 v[10:11], v[0:1], v[6:7]
	v_fma_f64 v[8:9], v[0:1], v[4:5], -v[8:9]
	v_fmac_f64_e32 v[10:11], v[2:3], v[4:5]
	v_add_co_u32_e32 v4, vcc, s6, v68
	ds_read_b128 v[0:3], v134 offset:39600
	s_nop 0
	v_addc_co_u32_e32 v5, vcc, 0, v69, vcc
	global_load_dwordx4 v[4:7], v[4:5], off offset:3488
	ds_write_b128 v134, v[8:11] offset:28800
	s_mov_b32 s6, 0x19000
	s_waitcnt vmcnt(0) lgkmcnt(1)
	v_mul_f64 v[8:9], v[2:3], v[6:7]
	v_mul_f64 v[10:11], v[0:1], v[6:7]
	v_fma_f64 v[8:9], v[0:1], v[4:5], -v[8:9]
	v_fmac_f64_e32 v[10:11], v[2:3], v[4:5]
	v_add_co_u32_e32 v4, vcc, s6, v68
	ds_read_b128 v[0:3], v134 offset:50400
	s_nop 0
	v_addc_co_u32_e32 v5, vcc, 0, v69, vcc
	global_load_dwordx4 v[4:7], v[4:5], off offset:2000
	ds_write_b128 v134, v[8:11] offset:39600
	s_waitcnt vmcnt(0) lgkmcnt(1)
	v_mul_f64 v[8:9], v[2:3], v[6:7]
	v_mul_f64 v[10:11], v[0:1], v[6:7]
	v_fma_f64 v[8:9], v[0:1], v[4:5], -v[8:9]
	v_fmac_f64_e32 v[10:11], v[2:3], v[4:5]
	ds_write_b128 v134, v[8:11] offset:50400
	s_waitcnt lgkmcnt(0)
	s_barrier
	ds_read_b128 v[8:11], v134
	ds_read_b128 v[24:27], v134 offset:10800
	ds_read_b128 v[68:71], v134 offset:21600
	;; [unrolled: 1-line block ×14, first 2 shown]
	s_waitcnt lgkmcnt(13)
	v_add_f64 v[12:13], v[8:9], v[24:25]
	s_waitcnt lgkmcnt(12)
	v_add_f64 v[12:13], v[12:13], v[68:69]
	;; [unrolled: 2-line block ×4, first 2 shown]
	v_add_f64 v[12:13], v[68:69], v[0:1]
	v_fma_f64 v[12:13], -0.5, v[12:13], v[8:9]
	v_add_f64 v[14:15], v[26:27], -v[22:23]
	v_fma_f64 v[44:45], s[12:13], v[14:15], v[12:13]
	v_add_f64 v[46:47], v[70:71], -v[2:3]
	v_add_f64 v[48:49], v[24:25], -v[68:69]
	v_add_f64 v[50:51], v[20:21], -v[0:1]
	v_fmac_f64_e32 v[12:13], s[2:3], v[14:15]
	v_fmac_f64_e32 v[44:45], s[10:11], v[46:47]
	v_add_f64 v[48:49], v[48:49], v[50:51]
	v_fmac_f64_e32 v[12:13], s[4:5], v[46:47]
	v_fmac_f64_e32 v[44:45], s[8:9], v[48:49]
	;; [unrolled: 1-line block ×3, first 2 shown]
	v_add_f64 v[48:49], v[24:25], v[20:21]
	v_fmac_f64_e32 v[8:9], -0.5, v[48:49]
	v_fma_f64 v[48:49], s[2:3], v[46:47], v[8:9]
	v_fmac_f64_e32 v[8:9], s[12:13], v[46:47]
	v_fmac_f64_e32 v[48:49], s[10:11], v[14:15]
	;; [unrolled: 1-line block ×3, first 2 shown]
	v_add_f64 v[14:15], v[10:11], v[26:27]
	v_add_f64 v[14:15], v[14:15], v[70:71]
	v_add_f64 v[50:51], v[68:69], -v[24:25]
	v_add_f64 v[74:75], v[0:1], -v[20:21]
	v_add_f64 v[14:15], v[14:15], v[2:3]
	v_add_f64 v[50:51], v[50:51], v[74:75]
	;; [unrolled: 1-line block ×4, first 2 shown]
	v_fma_f64 v[14:15], -0.5, v[14:15], v[10:11]
	v_add_f64 v[20:21], v[24:25], -v[20:21]
	v_fmac_f64_e32 v[48:49], s[8:9], v[50:51]
	v_fmac_f64_e32 v[8:9], s[8:9], v[50:51]
	v_fma_f64 v[46:47], s[2:3], v[20:21], v[14:15]
	v_add_f64 v[0:1], v[68:69], -v[0:1]
	v_add_f64 v[24:25], v[26:27], -v[70:71]
	;; [unrolled: 1-line block ×3, first 2 shown]
	v_fmac_f64_e32 v[14:15], s[12:13], v[20:21]
	v_fmac_f64_e32 v[46:47], s[4:5], v[0:1]
	v_add_f64 v[24:25], v[24:25], v[50:51]
	v_fmac_f64_e32 v[14:15], s[10:11], v[0:1]
	v_fmac_f64_e32 v[46:47], s[8:9], v[24:25]
	;; [unrolled: 1-line block ×3, first 2 shown]
	v_add_f64 v[24:25], v[26:27], v[22:23]
	v_fmac_f64_e32 v[10:11], -0.5, v[24:25]
	v_fma_f64 v[50:51], s[12:13], v[0:1], v[10:11]
	v_fmac_f64_e32 v[10:11], s[2:3], v[0:1]
	s_waitcnt lgkmcnt(8)
	v_add_f64 v[0:1], v[4:5], v[32:33]
	s_waitcnt lgkmcnt(7)
	v_add_f64 v[0:1], v[0:1], v[28:29]
	v_add_f64 v[24:25], v[70:71], -v[26:27]
	v_add_f64 v[2:3], v[2:3], -v[22:23]
	s_waitcnt lgkmcnt(6)
	v_add_f64 v[0:1], v[0:1], v[40:41]
	v_fmac_f64_e32 v[50:51], s[4:5], v[20:21]
	v_add_f64 v[2:3], v[24:25], v[2:3]
	v_fmac_f64_e32 v[10:11], s[10:11], v[20:21]
	s_waitcnt lgkmcnt(5)
	v_add_f64 v[68:69], v[0:1], v[36:37]
	v_add_f64 v[0:1], v[28:29], v[40:41]
	v_fmac_f64_e32 v[50:51], s[8:9], v[2:3]
	v_fmac_f64_e32 v[10:11], s[8:9], v[2:3]
	v_fma_f64 v[0:1], -0.5, v[0:1], v[4:5]
	v_add_f64 v[2:3], v[34:35], -v[38:39]
	v_fma_f64 v[20:21], s[12:13], v[2:3], v[0:1]
	v_add_f64 v[22:23], v[30:31], -v[42:43]
	v_add_f64 v[24:25], v[32:33], -v[28:29]
	;; [unrolled: 1-line block ×3, first 2 shown]
	v_fmac_f64_e32 v[0:1], s[2:3], v[2:3]
	v_fmac_f64_e32 v[20:21], s[10:11], v[22:23]
	v_add_f64 v[24:25], v[24:25], v[26:27]
	v_fmac_f64_e32 v[0:1], s[4:5], v[22:23]
	v_fmac_f64_e32 v[20:21], s[8:9], v[24:25]
	;; [unrolled: 1-line block ×3, first 2 shown]
	v_add_f64 v[24:25], v[32:33], v[36:37]
	v_fmac_f64_e32 v[4:5], -0.5, v[24:25]
	v_fma_f64 v[24:25], s[2:3], v[22:23], v[4:5]
	v_fmac_f64_e32 v[4:5], s[12:13], v[22:23]
	v_fmac_f64_e32 v[24:25], s[10:11], v[2:3]
	;; [unrolled: 1-line block ×3, first 2 shown]
	v_add_f64 v[2:3], v[6:7], v[34:35]
	v_add_f64 v[2:3], v[2:3], v[30:31]
	v_add_f64 v[26:27], v[28:29], -v[32:33]
	v_add_f64 v[70:71], v[40:41], -v[36:37]
	v_add_f64 v[2:3], v[2:3], v[42:43]
	v_add_f64 v[26:27], v[26:27], v[70:71]
	;; [unrolled: 1-line block ×4, first 2 shown]
	v_fma_f64 v[2:3], -0.5, v[2:3], v[6:7]
	v_add_f64 v[32:33], v[32:33], -v[36:37]
	v_fmac_f64_e32 v[24:25], s[8:9], v[26:27]
	v_fmac_f64_e32 v[4:5], s[8:9], v[26:27]
	v_fma_f64 v[22:23], s[2:3], v[32:33], v[2:3]
	v_add_f64 v[28:29], v[28:29], -v[40:41]
	v_add_f64 v[26:27], v[34:35], -v[30:31]
	;; [unrolled: 1-line block ×3, first 2 shown]
	v_fmac_f64_e32 v[2:3], s[12:13], v[32:33]
	v_fmac_f64_e32 v[22:23], s[4:5], v[28:29]
	v_add_f64 v[26:27], v[26:27], v[36:37]
	v_fmac_f64_e32 v[2:3], s[10:11], v[28:29]
	v_fmac_f64_e32 v[22:23], s[8:9], v[26:27]
	;; [unrolled: 1-line block ×3, first 2 shown]
	v_add_f64 v[26:27], v[34:35], v[38:39]
	v_fmac_f64_e32 v[6:7], -0.5, v[26:27]
	v_fma_f64 v[26:27], s[12:13], v[28:29], v[6:7]
	v_fmac_f64_e32 v[6:7], s[2:3], v[28:29]
	s_waitcnt lgkmcnt(3)
	v_add_f64 v[28:29], v[16:17], v[56:57]
	s_waitcnt lgkmcnt(2)
	v_add_f64 v[28:29], v[28:29], v[52:53]
	v_add_f64 v[30:31], v[30:31], -v[34:35]
	v_add_f64 v[34:35], v[42:43], -v[38:39]
	s_waitcnt lgkmcnt(1)
	v_add_f64 v[28:29], v[28:29], v[64:65]
	v_fmac_f64_e32 v[26:27], s[4:5], v[32:33]
	v_add_f64 v[30:31], v[30:31], v[34:35]
	v_fmac_f64_e32 v[6:7], s[10:11], v[32:33]
	s_waitcnt lgkmcnt(0)
	v_add_f64 v[40:41], v[28:29], v[60:61]
	v_add_f64 v[28:29], v[52:53], v[64:65]
	v_fmac_f64_e32 v[26:27], s[8:9], v[30:31]
	v_fmac_f64_e32 v[6:7], s[8:9], v[30:31]
	v_fma_f64 v[28:29], -0.5, v[28:29], v[16:17]
	v_add_f64 v[30:31], v[58:59], -v[62:63]
	v_fma_f64 v[36:37], s[12:13], v[30:31], v[28:29]
	v_add_f64 v[34:35], v[54:55], -v[66:67]
	v_add_f64 v[32:33], v[56:57], -v[52:53]
	;; [unrolled: 1-line block ×3, first 2 shown]
	v_fmac_f64_e32 v[28:29], s[2:3], v[30:31]
	v_fmac_f64_e32 v[36:37], s[10:11], v[34:35]
	v_add_f64 v[32:33], v[32:33], v[38:39]
	v_fmac_f64_e32 v[28:29], s[4:5], v[34:35]
	v_fmac_f64_e32 v[36:37], s[8:9], v[32:33]
	;; [unrolled: 1-line block ×3, first 2 shown]
	v_add_f64 v[32:33], v[56:57], v[60:61]
	v_fmac_f64_e32 v[16:17], -0.5, v[32:33]
	v_fma_f64 v[32:33], s[2:3], v[34:35], v[16:17]
	v_fmac_f64_e32 v[16:17], s[12:13], v[34:35]
	v_fmac_f64_e32 v[32:33], s[10:11], v[30:31]
	;; [unrolled: 1-line block ×3, first 2 shown]
	v_add_f64 v[30:31], v[18:19], v[58:59]
	v_add_f64 v[30:31], v[30:31], v[54:55]
	v_add_f64 v[38:39], v[52:53], -v[56:57]
	v_add_f64 v[42:43], v[64:65], -v[60:61]
	v_add_f64 v[30:31], v[30:31], v[66:67]
	v_add_f64 v[38:39], v[38:39], v[42:43]
	;; [unrolled: 1-line block ×4, first 2 shown]
	v_fma_f64 v[30:31], -0.5, v[30:31], v[18:19]
	v_add_f64 v[56:57], v[56:57], -v[60:61]
	v_fmac_f64_e32 v[32:33], s[8:9], v[38:39]
	v_fmac_f64_e32 v[16:17], s[8:9], v[38:39]
	v_fma_f64 v[38:39], s[2:3], v[56:57], v[30:31]
	v_add_f64 v[52:53], v[52:53], -v[64:65]
	v_add_f64 v[34:35], v[58:59], -v[54:55]
	v_add_f64 v[60:61], v[62:63], -v[66:67]
	v_fmac_f64_e32 v[30:31], s[12:13], v[56:57]
	v_fmac_f64_e32 v[38:39], s[4:5], v[52:53]
	v_add_f64 v[34:35], v[34:35], v[60:61]
	v_fmac_f64_e32 v[30:31], s[10:11], v[52:53]
	v_fmac_f64_e32 v[38:39], s[8:9], v[34:35]
	;; [unrolled: 1-line block ×3, first 2 shown]
	v_add_f64 v[34:35], v[58:59], v[62:63]
	v_fmac_f64_e32 v[18:19], -0.5, v[34:35]
	v_fma_f64 v[34:35], s[12:13], v[52:53], v[18:19]
	v_add_f64 v[54:55], v[54:55], -v[58:59]
	v_add_f64 v[58:59], v[66:67], -v[62:63]
	v_fmac_f64_e32 v[18:19], s[2:3], v[52:53]
	v_fmac_f64_e32 v[34:35], s[4:5], v[56:57]
	v_add_f64 v[54:55], v[54:55], v[58:59]
	v_fmac_f64_e32 v[18:19], s[10:11], v[56:57]
	v_fmac_f64_e32 v[34:35], s[8:9], v[54:55]
	;; [unrolled: 1-line block ×3, first 2 shown]
	s_barrier
	ds_write_b128 v82, v[72:75]
	ds_write_b128 v82, v[44:47] offset:16
	ds_write_b128 v82, v[48:51] offset:32
	;; [unrolled: 1-line block ×4, first 2 shown]
	ds_write_b128 v83, v[68:71]
	ds_write_b128 v83, v[20:23] offset:16
	ds_write_b128 v83, v[24:27] offset:32
	;; [unrolled: 1-line block ×4, first 2 shown]
	v_accvgpr_read_b32 v0, a114
	ds_write_b128 v0, v[40:43]
	ds_write_b128 v0, v[36:39] offset:16
	ds_write_b128 v0, v[32:35] offset:32
	;; [unrolled: 1-line block ×4, first 2 shown]
	s_waitcnt lgkmcnt(0)
	s_barrier
	ds_read_b128 v[0:3], v134
	ds_read_b128 v[12:15], v134 offset:10800
	ds_read_b128 v[16:19], v134 offset:21600
	;; [unrolled: 1-line block ×14, first 2 shown]
	s_waitcnt lgkmcnt(13)
	v_mul_f64 v[64:65], v[162:163], v[14:15]
	v_fmac_f64_e32 v[64:65], v[160:161], v[12:13]
	v_mul_f64 v[12:13], v[162:163], v[12:13]
	v_fma_f64 v[12:13], v[160:161], v[14:15], -v[12:13]
	s_waitcnt lgkmcnt(12)
	v_mul_f64 v[14:15], v[158:159], v[18:19]
	v_fmac_f64_e32 v[14:15], v[156:157], v[16:17]
	v_mul_f64 v[16:17], v[158:159], v[16:17]
	v_fma_f64 v[66:67], v[156:157], v[18:19], -v[16:17]
	s_waitcnt lgkmcnt(11)
	v_mul_f64 v[18:19], v[154:155], v[22:23]
	v_mul_f64 v[16:17], v[154:155], v[20:21]
	v_fmac_f64_e32 v[18:19], v[152:153], v[20:21]
	v_fma_f64 v[20:21], v[152:153], v[22:23], -v[16:17]
	s_waitcnt lgkmcnt(10)
	v_mul_f64 v[16:17], v[150:151], v[24:25]
	v_fma_f64 v[68:69], v[148:149], v[26:27], -v[16:17]
	s_waitcnt lgkmcnt(8)
	v_mul_f64 v[16:17], v[178:179], v[28:29]
	;; [unrolled: 3-line block ×5, first 2 shown]
	v_mul_f64 v[22:23], v[150:151], v[26:27]
	v_mul_f64 v[82:83], v[170:171], v[38:39]
	v_fma_f64 v[150:151], v[164:165], v[42:43], -v[16:17]
	s_waitcnt lgkmcnt(3)
	v_mul_f64 v[16:17], v[194:195], v[44:45]
	v_fmac_f64_e32 v[82:83], v[168:169], v[36:37]
	v_fma_f64 v[36:37], v[192:193], v[46:47], -v[16:17]
	s_waitcnt lgkmcnt(2)
	v_mul_f64 v[16:17], v[190:191], v[52:53]
	v_fma_f64 v[38:39], v[188:189], v[54:55], -v[16:17]
	s_waitcnt lgkmcnt(1)
	v_mul_f64 v[16:17], v[186:187], v[56:57]
	v_fmac_f64_e32 v[22:23], v[148:149], v[24:25]
	v_mul_f64 v[148:149], v[166:167], v[42:43]
	v_fma_f64 v[42:43], v[184:185], v[58:59], -v[16:17]
	s_waitcnt lgkmcnt(0)
	v_mul_f64 v[16:17], v[182:183], v[60:61]
	v_fmac_f64_e32 v[148:149], v[164:165], v[40:41]
	v_mul_f64 v[40:41], v[194:195], v[46:47]
	v_fma_f64 v[46:47], v[180:181], v[62:63], -v[16:17]
	v_add_f64 v[16:17], v[0:1], v[64:65]
	v_add_f64 v[16:17], v[16:17], v[14:15]
	v_mul_f64 v[72:73], v[174:175], v[34:35]
	v_add_f64 v[16:17], v[16:17], v[18:19]
	v_fmac_f64_e32 v[72:73], v[172:173], v[32:33]
	v_add_f64 v[32:33], v[16:17], v[22:23]
	v_add_f64 v[16:17], v[14:15], v[18:19]
	v_mul_f64 v[70:71], v[178:179], v[30:31]
	v_fma_f64 v[168:169], -0.5, v[16:17], v[0:1]
	v_add_f64 v[26:27], v[12:13], -v[68:69]
	v_fmac_f64_e32 v[70:71], v[176:177], v[28:29]
	v_fma_f64 v[24:25], s[12:13], v[26:27], v[168:169]
	v_add_f64 v[28:29], v[66:67], -v[20:21]
	v_add_f64 v[16:17], v[64:65], -v[14:15]
	;; [unrolled: 1-line block ×3, first 2 shown]
	v_fmac_f64_e32 v[168:169], s[2:3], v[26:27]
	v_fmac_f64_e32 v[24:25], s[10:11], v[28:29]
	v_add_f64 v[16:17], v[16:17], v[30:31]
	v_fmac_f64_e32 v[168:169], s[4:5], v[28:29]
	v_fmac_f64_e32 v[24:25], s[8:9], v[16:17]
	;; [unrolled: 1-line block ×3, first 2 shown]
	v_add_f64 v[16:17], v[64:65], v[22:23]
	v_fmac_f64_e32 v[0:1], -0.5, v[16:17]
	v_fma_f64 v[16:17], s[2:3], v[28:29], v[0:1]
	v_fmac_f64_e32 v[0:1], s[12:13], v[28:29]
	v_fmac_f64_e32 v[16:17], s[10:11], v[26:27]
	;; [unrolled: 1-line block ×3, first 2 shown]
	v_add_f64 v[26:27], v[2:3], v[12:13]
	v_add_f64 v[26:27], v[26:27], v[66:67]
	v_add_f64 v[30:31], v[14:15], -v[64:65]
	v_add_f64 v[34:35], v[18:19], -v[22:23]
	v_add_f64 v[26:27], v[26:27], v[20:21]
	v_add_f64 v[30:31], v[30:31], v[34:35]
	;; [unrolled: 1-line block ×4, first 2 shown]
	v_fma_f64 v[170:171], -0.5, v[26:27], v[2:3]
	v_add_f64 v[22:23], v[64:65], -v[22:23]
	v_fma_f64 v[26:27], s[2:3], v[22:23], v[170:171]
	v_add_f64 v[14:15], v[14:15], -v[18:19]
	v_add_f64 v[18:19], v[12:13], -v[66:67]
	;; [unrolled: 1-line block ×3, first 2 shown]
	v_fmac_f64_e32 v[170:171], s[12:13], v[22:23]
	v_fmac_f64_e32 v[26:27], s[4:5], v[14:15]
	v_add_f64 v[18:19], v[18:19], v[28:29]
	v_fmac_f64_e32 v[170:171], s[10:11], v[14:15]
	v_fmac_f64_e32 v[26:27], s[8:9], v[18:19]
	v_fmac_f64_e32 v[170:171], s[8:9], v[18:19]
	v_add_f64 v[18:19], v[12:13], v[68:69]
	v_fmac_f64_e32 v[2:3], -0.5, v[18:19]
	v_fma_f64 v[18:19], s[12:13], v[14:15], v[2:3]
	v_add_f64 v[12:13], v[66:67], -v[12:13]
	v_add_f64 v[20:21], v[20:21], -v[68:69]
	v_fmac_f64_e32 v[2:3], s[2:3], v[14:15]
	v_fmac_f64_e32 v[18:19], s[4:5], v[22:23]
	v_add_f64 v[12:13], v[12:13], v[20:21]
	v_fmac_f64_e32 v[2:3], s[10:11], v[22:23]
	v_fmac_f64_e32 v[18:19], s[8:9], v[12:13]
	;; [unrolled: 1-line block ×3, first 2 shown]
	v_add_f64 v[12:13], v[4:5], v[70:71]
	v_add_f64 v[12:13], v[12:13], v[72:73]
	;; [unrolled: 1-line block ×5, first 2 shown]
	v_fma_f64 v[160:161], -0.5, v[12:13], v[4:5]
	v_add_f64 v[14:15], v[50:51], -v[150:151]
	v_fmac_f64_e32 v[16:17], s[8:9], v[30:31]
	v_fmac_f64_e32 v[0:1], s[8:9], v[30:31]
	v_fma_f64 v[20:21], s[12:13], v[14:15], v[160:161]
	v_add_f64 v[22:23], v[74:75], -v[128:129]
	v_add_f64 v[12:13], v[70:71], -v[72:73]
	;; [unrolled: 1-line block ×3, first 2 shown]
	v_fmac_f64_e32 v[160:161], s[2:3], v[14:15]
	v_fmac_f64_e32 v[20:21], s[10:11], v[22:23]
	v_add_f64 v[12:13], v[12:13], v[30:31]
	v_fmac_f64_e32 v[160:161], s[4:5], v[22:23]
	v_fmac_f64_e32 v[20:21], s[8:9], v[12:13]
	;; [unrolled: 1-line block ×3, first 2 shown]
	v_add_f64 v[12:13], v[70:71], v[148:149]
	v_fmac_f64_e32 v[4:5], -0.5, v[12:13]
	v_fma_f64 v[12:13], s[2:3], v[22:23], v[4:5]
	v_fmac_f64_e32 v[4:5], s[12:13], v[22:23]
	v_fmac_f64_e32 v[12:13], s[10:11], v[14:15]
	;; [unrolled: 1-line block ×3, first 2 shown]
	v_add_f64 v[14:15], v[6:7], v[50:51]
	v_fmac_f64_e32 v[40:41], v[192:193], v[44:45]
	v_mul_f64 v[44:45], v[190:191], v[54:55]
	v_add_f64 v[30:31], v[72:73], -v[70:71]
	v_add_f64 v[54:55], v[82:83], -v[148:149]
	v_add_f64 v[14:15], v[14:15], v[74:75]
	v_add_f64 v[30:31], v[30:31], v[54:55]
	;; [unrolled: 1-line block ×3, first 2 shown]
	v_fmac_f64_e32 v[12:13], s[8:9], v[30:31]
	v_fmac_f64_e32 v[4:5], s[8:9], v[30:31]
	v_add_f64 v[30:31], v[14:15], v[150:151]
	v_add_f64 v[14:15], v[74:75], v[128:129]
	v_mul_f64 v[48:49], v[186:187], v[58:59]
	v_fma_f64 v[162:163], -0.5, v[14:15], v[6:7]
	v_add_f64 v[54:55], v[70:71], -v[148:149]
	v_fmac_f64_e32 v[48:49], v[184:185], v[56:57]
	v_fma_f64 v[22:23], s[2:3], v[54:55], v[162:163]
	v_add_f64 v[56:57], v[72:73], -v[82:83]
	v_add_f64 v[14:15], v[50:51], -v[74:75]
	;; [unrolled: 1-line block ×3, first 2 shown]
	v_fmac_f64_e32 v[162:163], s[12:13], v[54:55]
	v_fmac_f64_e32 v[22:23], s[4:5], v[56:57]
	v_add_f64 v[14:15], v[14:15], v[58:59]
	v_fmac_f64_e32 v[162:163], s[10:11], v[56:57]
	v_fmac_f64_e32 v[22:23], s[8:9], v[14:15]
	;; [unrolled: 1-line block ×3, first 2 shown]
	v_add_f64 v[14:15], v[50:51], v[150:151]
	v_fmac_f64_e32 v[6:7], -0.5, v[14:15]
	v_fma_f64 v[14:15], s[12:13], v[56:57], v[6:7]
	v_add_f64 v[50:51], v[74:75], -v[50:51]
	v_add_f64 v[58:59], v[128:129], -v[150:151]
	v_fmac_f64_e32 v[6:7], s[2:3], v[56:57]
	v_fmac_f64_e32 v[14:15], s[4:5], v[54:55]
	v_add_f64 v[50:51], v[50:51], v[58:59]
	v_fmac_f64_e32 v[6:7], s[10:11], v[54:55]
	v_fmac_f64_e32 v[44:45], v[188:189], v[52:53]
	;; [unrolled: 1-line block ×4, first 2 shown]
	v_add_f64 v[50:51], v[8:9], v[40:41]
	v_mul_f64 v[52:53], v[182:183], v[62:63]
	v_add_f64 v[50:51], v[50:51], v[44:45]
	v_fmac_f64_e32 v[52:53], v[180:181], v[60:61]
	v_add_f64 v[50:51], v[50:51], v[48:49]
	v_add_f64 v[164:165], v[50:51], v[52:53]
	v_add_f64 v[50:51], v[44:45], v[48:49]
	v_fma_f64 v[148:149], -0.5, v[50:51], v[8:9]
	v_add_f64 v[50:51], v[36:37], -v[46:47]
	v_fma_f64 v[156:157], s[12:13], v[50:51], v[148:149]
	v_add_f64 v[54:55], v[38:39], -v[42:43]
	v_add_f64 v[56:57], v[40:41], -v[44:45]
	;; [unrolled: 1-line block ×3, first 2 shown]
	v_fmac_f64_e32 v[148:149], s[2:3], v[50:51]
	v_fmac_f64_e32 v[156:157], s[10:11], v[54:55]
	v_add_f64 v[56:57], v[56:57], v[58:59]
	v_fmac_f64_e32 v[148:149], s[4:5], v[54:55]
	v_fmac_f64_e32 v[156:157], s[8:9], v[56:57]
	;; [unrolled: 1-line block ×3, first 2 shown]
	v_add_f64 v[56:57], v[40:41], v[52:53]
	v_fmac_f64_e32 v[8:9], -0.5, v[56:57]
	v_fma_f64 v[152:153], s[2:3], v[54:55], v[8:9]
	v_fmac_f64_e32 v[8:9], s[12:13], v[54:55]
	v_fmac_f64_e32 v[152:153], s[10:11], v[50:51]
	;; [unrolled: 1-line block ×3, first 2 shown]
	v_add_f64 v[50:51], v[10:11], v[36:37]
	v_add_f64 v[50:51], v[50:51], v[38:39]
	;; [unrolled: 1-line block ×5, first 2 shown]
	v_add_f64 v[56:57], v[44:45], -v[40:41]
	v_fma_f64 v[150:151], -0.5, v[50:51], v[10:11]
	v_add_f64 v[40:41], v[40:41], -v[52:53]
	v_add_f64 v[58:59], v[48:49], -v[52:53]
	v_fma_f64 v[158:159], s[2:3], v[40:41], v[150:151]
	v_add_f64 v[44:45], v[44:45], -v[48:49]
	v_add_f64 v[48:49], v[36:37], -v[38:39]
	;; [unrolled: 1-line block ×3, first 2 shown]
	v_fmac_f64_e32 v[150:151], s[12:13], v[40:41]
	v_fmac_f64_e32 v[158:159], s[4:5], v[44:45]
	v_add_f64 v[48:49], v[48:49], v[50:51]
	v_fmac_f64_e32 v[150:151], s[10:11], v[44:45]
	v_fmac_f64_e32 v[158:159], s[8:9], v[48:49]
	;; [unrolled: 1-line block ×3, first 2 shown]
	v_add_f64 v[48:49], v[36:37], v[46:47]
	v_fmac_f64_e32 v[10:11], -0.5, v[48:49]
	v_fma_f64 v[154:155], s[12:13], v[44:45], v[10:11]
	v_add_f64 v[36:37], v[38:39], -v[36:37]
	v_add_f64 v[38:39], v[42:43], -v[46:47]
	v_fmac_f64_e32 v[10:11], s[2:3], v[44:45]
	v_fmac_f64_e32 v[154:155], s[4:5], v[40:41]
	v_add_f64 v[36:37], v[36:37], v[38:39]
	v_fmac_f64_e32 v[10:11], s[10:11], v[40:41]
	v_fmac_f64_e32 v[154:155], s[8:9], v[36:37]
	v_fmac_f64_e32 v[10:11], s[8:9], v[36:37]
	v_accvgpr_read_b32 v36, a113
	v_add_f64 v[56:57], v[56:57], v[58:59]
	s_barrier
	ds_write_b128 v36, v[32:35]
	ds_write_b128 v36, v[24:27] offset:80
	ds_write_b128 v36, v[16:19] offset:160
	;; [unrolled: 1-line block ×4, first 2 shown]
	v_accvgpr_read_b32 v0, a112
	v_fmac_f64_e32 v[8:9], s[8:9], v[56:57]
	ds_write_b128 v0, v[28:31]
	ds_write_b128 v0, v[20:23] offset:80
	ds_write_b128 v0, v[12:15] offset:160
	;; [unrolled: 1-line block ×4, first 2 shown]
	v_accvgpr_read_b32 v0, a67
	v_fmac_f64_e32 v[152:153], s[8:9], v[56:57]
	ds_write_b128 v0, v[164:167]
	ds_write_b128 v0, v[156:159] offset:80
	ds_write_b128 v0, v[152:155] offset:160
	;; [unrolled: 1-line block ×4, first 2 shown]
	s_waitcnt lgkmcnt(0)
	s_barrier
	ds_read_b128 v[4:7], v134
	ds_read_b128 v[8:11], v134 offset:10800
	ds_read_b128 v[12:15], v134 offset:21600
	;; [unrolled: 1-line block ×14, first 2 shown]
	s_waitcnt lgkmcnt(13)
	v_mul_f64 v[60:61], v[98:99], v[10:11]
	v_fmac_f64_e32 v[60:61], v[96:97], v[8:9]
	v_mul_f64 v[8:9], v[98:99], v[8:9]
	s_waitcnt lgkmcnt(12)
	v_mul_f64 v[64:65], v[90:91], v[14:15]
	v_fma_f64 v[62:63], v[96:97], v[10:11], -v[8:9]
	v_fmac_f64_e32 v[64:65], v[88:89], v[12:13]
	v_mul_f64 v[8:9], v[90:91], v[12:13]
	v_accvgpr_read_b32 v10, a88
	v_fma_f64 v[66:67], v[88:89], v[14:15], -v[8:9]
	s_waitcnt lgkmcnt(11)
	v_mul_f64 v[8:9], v[86:87], v[16:17]
	v_accvgpr_read_b32 v12, a90
	v_accvgpr_read_b32 v13, a91
	v_fma_f64 v[68:69], v[84:85], v[18:19], -v[8:9]
	v_accvgpr_read_b32 v11, a89
	s_waitcnt lgkmcnt(10)
	v_mul_f64 v[8:9], v[12:13], v[20:21]
	v_fma_f64 v[70:71], v[10:11], v[22:23], -v[8:9]
	s_waitcnt lgkmcnt(8)
	v_mul_f64 v[8:9], v[126:127], v[24:25]
	v_fma_f64 v[38:39], v[124:125], v[26:27], -v[8:9]
	;; [unrolled: 3-line block ×4, first 2 shown]
	s_waitcnt lgkmcnt(5)
	v_mul_f64 v[96:97], v[102:103], v[42:43]
	v_mul_f64 v[8:9], v[102:103], v[40:41]
	;; [unrolled: 1-line block ×3, first 2 shown]
	v_fmac_f64_e32 v[96:97], v[100:101], v[40:41]
	v_fma_f64 v[40:41], v[100:101], v[42:43], -v[8:9]
	s_waitcnt lgkmcnt(3)
	v_mul_f64 v[8:9], v[146:147], v[44:45]
	v_fmac_f64_e32 v[72:73], v[124:125], v[24:25]
	v_fma_f64 v[24:25], v[144:145], v[46:47], -v[8:9]
	s_waitcnt lgkmcnt(2)
	v_mul_f64 v[8:9], v[142:143], v[48:49]
	v_fma_f64 v[26:27], v[140:141], v[50:51], -v[8:9]
	s_waitcnt lgkmcnt(1)
	v_mul_f64 v[8:9], v[138:139], v[52:53]
	v_mul_f64 v[74:75], v[114:115], v[30:31]
	v_fma_f64 v[30:31], v[136:137], v[54:55], -v[8:9]
	s_waitcnt lgkmcnt(0)
	v_mul_f64 v[8:9], v[78:79], v[56:57]
	v_mul_f64 v[14:15], v[86:87], v[18:19]
	;; [unrolled: 1-line block ×3, first 2 shown]
	v_fma_f64 v[34:35], v[76:77], v[58:59], -v[8:9]
	v_add_f64 v[8:9], v[4:5], v[60:61]
	v_fmac_f64_e32 v[14:15], v[84:85], v[16:17]
	v_mul_f64 v[18:19], v[12:13], v[22:23]
	v_add_f64 v[8:9], v[8:9], v[64:65]
	v_fmac_f64_e32 v[18:19], v[10:11], v[20:21]
	v_add_f64 v[8:9], v[8:9], v[14:15]
	v_add_f64 v[20:21], v[8:9], v[18:19]
	;; [unrolled: 1-line block ×3, first 2 shown]
	v_fmac_f64_e32 v[74:75], v[112:113], v[28:29]
	v_mul_f64 v[28:29], v[146:147], v[46:47]
	v_fma_f64 v[8:9], -0.5, v[8:9], v[4:5]
	v_add_f64 v[10:11], v[62:63], -v[70:71]
	v_fmac_f64_e32 v[28:29], v[144:145], v[44:45]
	v_fma_f64 v[16:17], s[12:13], v[10:11], v[8:9]
	v_add_f64 v[22:23], v[66:67], -v[68:69]
	v_add_f64 v[12:13], v[60:61], -v[64:65]
	;; [unrolled: 1-line block ×3, first 2 shown]
	v_fmac_f64_e32 v[8:9], s[2:3], v[10:11]
	v_fmac_f64_e32 v[16:17], s[10:11], v[22:23]
	v_add_f64 v[12:13], v[12:13], v[44:45]
	v_fmac_f64_e32 v[8:9], s[4:5], v[22:23]
	v_fmac_f64_e32 v[16:17], s[8:9], v[12:13]
	;; [unrolled: 1-line block ×3, first 2 shown]
	v_add_f64 v[12:13], v[60:61], v[18:19]
	v_fmac_f64_e32 v[4:5], -0.5, v[12:13]
	v_fma_f64 v[12:13], s[2:3], v[22:23], v[4:5]
	v_fmac_f64_e32 v[4:5], s[12:13], v[22:23]
	v_fmac_f64_e32 v[12:13], s[10:11], v[10:11]
	v_fmac_f64_e32 v[4:5], s[4:5], v[10:11]
	v_add_f64 v[10:11], v[6:7], v[62:63]
	v_add_f64 v[10:11], v[10:11], v[66:67]
	v_add_f64 v[44:45], v[64:65], -v[60:61]
	v_add_f64 v[46:47], v[14:15], -v[18:19]
	v_add_f64 v[10:11], v[10:11], v[68:69]
	v_add_f64 v[44:45], v[44:45], v[46:47]
	v_add_f64 v[22:23], v[10:11], v[70:71]
	v_add_f64 v[10:11], v[66:67], v[68:69]
	v_fmac_f64_e32 v[88:89], v[104:105], v[32:33]
	v_mul_f64 v[32:33], v[142:143], v[50:51]
	v_fmac_f64_e32 v[12:13], s[8:9], v[44:45]
	v_fmac_f64_e32 v[4:5], s[8:9], v[44:45]
	v_fma_f64 v[10:11], -0.5, v[10:11], v[6:7]
	v_add_f64 v[44:45], v[60:61], -v[18:19]
	v_fmac_f64_e32 v[32:33], v[140:141], v[48:49]
	v_fma_f64 v[18:19], s[2:3], v[44:45], v[10:11]
	v_add_f64 v[46:47], v[64:65], -v[14:15]
	v_add_f64 v[14:15], v[62:63], -v[66:67]
	;; [unrolled: 1-line block ×3, first 2 shown]
	v_fmac_f64_e32 v[10:11], s[12:13], v[44:45]
	v_fmac_f64_e32 v[18:19], s[4:5], v[46:47]
	v_add_f64 v[14:15], v[14:15], v[48:49]
	v_fmac_f64_e32 v[10:11], s[10:11], v[46:47]
	v_fmac_f64_e32 v[18:19], s[8:9], v[14:15]
	;; [unrolled: 1-line block ×3, first 2 shown]
	v_add_f64 v[14:15], v[62:63], v[70:71]
	v_fmac_f64_e32 v[6:7], -0.5, v[14:15]
	v_fma_f64 v[14:15], s[12:13], v[46:47], v[6:7]
	v_fmac_f64_e32 v[6:7], s[2:3], v[46:47]
	v_fmac_f64_e32 v[14:15], s[4:5], v[44:45]
	v_fmac_f64_e32 v[6:7], s[10:11], v[44:45]
	v_add_f64 v[44:45], v[0:1], v[72:73]
	v_add_f64 v[44:45], v[44:45], v[74:75]
	;; [unrolled: 1-line block ×3, first 2 shown]
	v_add_f64 v[48:49], v[66:67], -v[62:63]
	v_add_f64 v[50:51], v[68:69], -v[70:71]
	v_add_f64 v[124:125], v[44:45], v[96:97]
	v_add_f64 v[44:45], v[74:75], v[88:89]
	;; [unrolled: 1-line block ×3, first 2 shown]
	v_fma_f64 v[84:85], -0.5, v[44:45], v[0:1]
	v_add_f64 v[44:45], v[38:39], -v[40:41]
	v_fmac_f64_e32 v[14:15], s[8:9], v[48:49]
	v_fmac_f64_e32 v[6:7], s[8:9], v[48:49]
	v_fma_f64 v[112:113], s[12:13], v[44:45], v[84:85]
	v_add_f64 v[46:47], v[82:83], -v[90:91]
	v_add_f64 v[48:49], v[72:73], -v[74:75]
	;; [unrolled: 1-line block ×3, first 2 shown]
	v_fmac_f64_e32 v[84:85], s[2:3], v[44:45]
	v_fmac_f64_e32 v[112:113], s[10:11], v[46:47]
	v_add_f64 v[48:49], v[48:49], v[50:51]
	v_fmac_f64_e32 v[84:85], s[4:5], v[46:47]
	v_fmac_f64_e32 v[112:113], s[8:9], v[48:49]
	;; [unrolled: 1-line block ×3, first 2 shown]
	v_add_f64 v[48:49], v[72:73], v[96:97]
	v_fmac_f64_e32 v[0:1], -0.5, v[48:49]
	v_fma_f64 v[100:101], s[2:3], v[46:47], v[0:1]
	v_fmac_f64_e32 v[0:1], s[12:13], v[46:47]
	v_fmac_f64_e32 v[100:101], s[10:11], v[44:45]
	;; [unrolled: 1-line block ×3, first 2 shown]
	v_add_f64 v[44:45], v[2:3], v[38:39]
	v_add_f64 v[44:45], v[44:45], v[82:83]
	;; [unrolled: 1-line block ×3, first 2 shown]
	v_add_f64 v[48:49], v[74:75], -v[72:73]
	v_add_f64 v[50:51], v[88:89], -v[96:97]
	v_add_f64 v[126:127], v[44:45], v[40:41]
	v_add_f64 v[44:45], v[82:83], v[90:91]
	;; [unrolled: 1-line block ×3, first 2 shown]
	v_fma_f64 v[86:87], -0.5, v[44:45], v[2:3]
	v_add_f64 v[44:45], v[72:73], -v[96:97]
	v_fmac_f64_e32 v[100:101], s[8:9], v[48:49]
	v_fmac_f64_e32 v[0:1], s[8:9], v[48:49]
	v_fma_f64 v[114:115], s[2:3], v[44:45], v[86:87]
	v_add_f64 v[46:47], v[74:75], -v[88:89]
	v_add_f64 v[48:49], v[38:39], -v[82:83]
	v_add_f64 v[50:51], v[40:41], -v[90:91]
	v_fmac_f64_e32 v[86:87], s[12:13], v[44:45]
	v_fmac_f64_e32 v[114:115], s[4:5], v[46:47]
	v_add_f64 v[48:49], v[48:49], v[50:51]
	v_fmac_f64_e32 v[86:87], s[10:11], v[46:47]
	v_fmac_f64_e32 v[114:115], s[8:9], v[48:49]
	;; [unrolled: 1-line block ×3, first 2 shown]
	v_add_f64 v[48:49], v[38:39], v[40:41]
	v_fmac_f64_e32 v[2:3], -0.5, v[48:49]
	v_fma_f64 v[102:103], s[12:13], v[46:47], v[2:3]
	v_add_f64 v[38:39], v[82:83], -v[38:39]
	v_add_f64 v[40:41], v[90:91], -v[40:41]
	v_fmac_f64_e32 v[2:3], s[2:3], v[46:47]
	v_fmac_f64_e32 v[102:103], s[4:5], v[44:45]
	v_add_f64 v[38:39], v[38:39], v[40:41]
	v_fmac_f64_e32 v[2:3], s[10:11], v[44:45]
	v_mul_f64 v[36:37], v[138:139], v[54:55]
	v_fmac_f64_e32 v[102:103], s[8:9], v[38:39]
	v_fmac_f64_e32 v[2:3], s[8:9], v[38:39]
	v_add_f64 v[38:39], v[148:149], v[28:29]
	v_fmac_f64_e32 v[36:37], v[136:137], v[52:53]
	v_mul_f64 v[42:43], v[78:79], v[58:59]
	v_add_f64 v[38:39], v[38:39], v[32:33]
	v_fmac_f64_e32 v[42:43], v[76:77], v[56:57]
	v_add_f64 v[38:39], v[38:39], v[36:37]
	v_add_f64 v[104:105], v[38:39], v[42:43]
	;; [unrolled: 1-line block ×3, first 2 shown]
	v_fma_f64 v[76:77], -0.5, v[38:39], v[148:149]
	v_add_f64 v[38:39], v[24:25], -v[34:35]
	v_fma_f64 v[96:97], s[12:13], v[38:39], v[76:77]
	v_add_f64 v[40:41], v[26:27], -v[30:31]
	v_add_f64 v[44:45], v[28:29], -v[32:33]
	v_add_f64 v[46:47], v[42:43], -v[36:37]
	v_fmac_f64_e32 v[76:77], s[2:3], v[38:39]
	v_fmac_f64_e32 v[96:97], s[10:11], v[40:41]
	v_add_f64 v[44:45], v[44:45], v[46:47]
	v_fmac_f64_e32 v[76:77], s[4:5], v[40:41]
	v_fmac_f64_e32 v[96:97], s[8:9], v[44:45]
	;; [unrolled: 1-line block ×3, first 2 shown]
	v_add_f64 v[44:45], v[28:29], v[42:43]
	v_fmac_f64_e32 v[148:149], -0.5, v[44:45]
	v_fma_f64 v[88:89], s[2:3], v[40:41], v[148:149]
	v_fmac_f64_e32 v[148:149], s[12:13], v[40:41]
	v_fmac_f64_e32 v[88:89], s[10:11], v[38:39]
	;; [unrolled: 1-line block ×3, first 2 shown]
	v_add_f64 v[38:39], v[150:151], v[24:25]
	v_add_f64 v[38:39], v[38:39], v[26:27]
	;; [unrolled: 1-line block ×5, first 2 shown]
	v_add_f64 v[44:45], v[32:33], -v[28:29]
	v_fma_f64 v[78:79], -0.5, v[38:39], v[150:151]
	v_add_f64 v[28:29], v[28:29], -v[42:43]
	v_add_f64 v[46:47], v[36:37], -v[42:43]
	v_fma_f64 v[98:99], s[2:3], v[28:29], v[78:79]
	v_add_f64 v[32:33], v[32:33], -v[36:37]
	v_add_f64 v[36:37], v[24:25], -v[26:27]
	;; [unrolled: 1-line block ×3, first 2 shown]
	v_fmac_f64_e32 v[78:79], s[12:13], v[28:29]
	v_fmac_f64_e32 v[98:99], s[4:5], v[32:33]
	v_add_f64 v[36:37], v[36:37], v[38:39]
	v_fmac_f64_e32 v[78:79], s[10:11], v[32:33]
	v_fmac_f64_e32 v[98:99], s[8:9], v[36:37]
	;; [unrolled: 1-line block ×3, first 2 shown]
	v_add_f64 v[36:37], v[24:25], v[34:35]
	v_fmac_f64_e32 v[150:151], -0.5, v[36:37]
	v_fma_f64 v[90:91], s[12:13], v[32:33], v[150:151]
	v_add_f64 v[24:25], v[26:27], -v[24:25]
	v_add_f64 v[26:27], v[30:31], -v[34:35]
	v_fmac_f64_e32 v[150:151], s[2:3], v[32:33]
	v_fmac_f64_e32 v[90:91], s[4:5], v[28:29]
	v_add_f64 v[24:25], v[24:25], v[26:27]
	v_fmac_f64_e32 v[150:151], s[10:11], v[28:29]
	v_fmac_f64_e32 v[90:91], s[8:9], v[24:25]
	;; [unrolled: 1-line block ×3, first 2 shown]
	v_accvgpr_read_b32 v24, a64
	s_barrier
	ds_write_b128 v24, v[20:23]
	ds_write_b128 v24, v[16:19] offset:400
	ds_write_b128 v24, v[12:15] offset:800
	;; [unrolled: 1-line block ×4, first 2 shown]
	v_accvgpr_read_b32 v4, a65
	v_accvgpr_read_b32 v62, a72
	v_add_f64 v[44:45], v[44:45], v[46:47]
	ds_write_b128 v4, v[124:127]
	ds_write_b128 v4, v[112:115] offset:400
	ds_write_b128 v4, v[100:103] offset:800
	;; [unrolled: 1-line block ×4, first 2 shown]
	v_accvgpr_read_b32 v0, a66
	v_accvgpr_read_b32 v64, a74
	v_accvgpr_read_b32 v65, a75
	v_fmac_f64_e32 v[88:89], s[8:9], v[44:45]
	v_fmac_f64_e32 v[148:149], s[8:9], v[44:45]
	ds_write_b128 v0, v[104:107]
	ds_write_b128 v0, v[96:99] offset:400
	ds_write_b128 v0, v[88:91] offset:800
	;; [unrolled: 1-line block ×4, first 2 shown]
	s_waitcnt lgkmcnt(0)
	s_barrier
	ds_read_b128 v[16:19], v134
	ds_read_b128 v[20:23], v134 offset:18000
	ds_read_b128 v[24:27], v134 offset:36000
	;; [unrolled: 1-line block ×14, first 2 shown]
	v_accvgpr_read_b32 v63, a73
	s_waitcnt lgkmcnt(13)
	v_mul_f64 v[60:61], v[64:65], v[22:23]
	v_fmac_f64_e32 v[60:61], v[62:63], v[20:21]
	v_mul_f64 v[20:21], v[64:65], v[20:21]
	v_fma_f64 v[20:21], v[62:63], v[22:23], -v[20:21]
	v_accvgpr_read_b32 v62, a68
	v_accvgpr_read_b32 v64, a70
	v_accvgpr_read_b32 v65, a71
	v_accvgpr_read_b32 v63, a69
	s_waitcnt lgkmcnt(12)
	v_mul_f64 v[22:23], v[64:65], v[26:27]
	v_fmac_f64_e32 v[22:23], v[62:63], v[24:25]
	v_mul_f64 v[24:25], v[64:65], v[24:25]
	v_fma_f64 v[24:25], v[62:63], v[26:27], -v[24:25]
	v_accvgpr_read_b32 v62, a80
	v_accvgpr_read_b32 v64, a82
	v_accvgpr_read_b32 v65, a83
	;; [unrolled: 9-line block ×4, first 2 shown]
	v_accvgpr_read_b32 v66, a92
	v_accvgpr_read_b32 v63, a85
	s_waitcnt lgkmcnt(7)
	v_mul_f64 v[34:35], v[64:65], v[38:39]
	v_accvgpr_read_b32 v68, a94
	v_accvgpr_read_b32 v69, a95
	v_fmac_f64_e32 v[34:35], v[62:63], v[36:37]
	v_mul_f64 v[36:37], v[64:65], v[36:37]
	v_accvgpr_read_b32 v67, a93
	s_waitcnt lgkmcnt(6)
	v_mul_f64 v[64:65], v[68:69], v[42:43]
	v_fma_f64 v[62:63], v[62:63], v[38:39], -v[36:37]
	v_fmac_f64_e32 v[64:65], v[66:67], v[40:41]
	v_mul_f64 v[36:37], v[68:69], v[40:41]
	v_accvgpr_read_b32 v38, a96
	v_accvgpr_read_b32 v40, a98
	;; [unrolled: 1-line block ×3, first 2 shown]
	v_fma_f64 v[66:67], v[66:67], v[42:43], -v[36:37]
	v_accvgpr_read_b32 v39, a97
	s_waitcnt lgkmcnt(4)
	v_mul_f64 v[68:69], v[40:41], v[46:47]
	v_mul_f64 v[36:37], v[40:41], v[44:45]
	v_fmac_f64_e32 v[68:69], v[38:39], v[44:45]
	v_fma_f64 v[70:71], v[38:39], v[46:47], -v[36:37]
	v_accvgpr_read_b32 v38, a100
	v_accvgpr_read_b32 v40, a102
	v_accvgpr_read_b32 v41, a103
	v_accvgpr_read_b32 v39, a101
	s_waitcnt lgkmcnt(3)
	v_mul_f64 v[72:73], v[40:41], v[50:51]
	v_mul_f64 v[36:37], v[40:41], v[48:49]
	v_fmac_f64_e32 v[72:73], v[38:39], v[48:49]
	v_fma_f64 v[74:75], v[38:39], v[50:51], -v[36:37]
	v_accvgpr_read_b32 v38, a104
	v_accvgpr_read_b32 v40, a106
	v_accvgpr_read_b32 v41, a107
	;; [unrolled: 9-line block ×3, first 2 shown]
	v_accvgpr_read_b32 v39, a109
	s_waitcnt lgkmcnt(0)
	v_mul_f64 v[82:83], v[40:41], v[58:59]
	v_mul_f64 v[36:37], v[40:41], v[56:57]
	v_fmac_f64_e32 v[82:83], v[38:39], v[56:57]
	v_fma_f64 v[84:85], v[38:39], v[58:59], -v[36:37]
	v_add_f64 v[38:39], v[60:61], v[22:23]
	v_add_f64 v[36:37], v[16:17], v[60:61]
	v_fmac_f64_e32 v[16:17], -0.5, v[38:39]
	v_add_f64 v[38:39], v[20:21], -v[24:25]
	v_fma_f64 v[40:41], s[14:15], v[38:39], v[16:17]
	v_fmac_f64_e32 v[16:17], s[16:17], v[38:39]
	v_add_f64 v[38:39], v[18:19], v[20:21]
	v_add_f64 v[20:21], v[20:21], v[24:25]
	v_fmac_f64_e32 v[18:19], -0.5, v[20:21]
	v_add_f64 v[20:21], v[60:61], -v[22:23]
	v_fma_f64 v[42:43], s[16:17], v[20:21], v[18:19]
	v_fmac_f64_e32 v[18:19], s[14:15], v[20:21]
	v_add_f64 v[20:21], v[8:9], v[26:27]
	v_add_f64 v[44:45], v[20:21], v[30:31]
	v_add_f64 v[20:21], v[26:27], v[30:31]
	v_fmac_f64_e32 v[8:9], -0.5, v[20:21]
	v_add_f64 v[20:21], v[28:29], -v[32:33]
	v_fma_f64 v[48:49], s[14:15], v[20:21], v[8:9]
	v_fmac_f64_e32 v[8:9], s[16:17], v[20:21]
	v_add_f64 v[20:21], v[10:11], v[28:29]
	;; [unrolled: 7-line block ×7, first 2 shown]
	v_add_f64 v[38:39], v[38:39], v[24:25]
	v_add_f64 v[24:25], v[20:21], v[82:83]
	;; [unrolled: 1-line block ×4, first 2 shown]
	v_fmac_f64_e32 v[0:1], -0.5, v[20:21]
	v_add_f64 v[22:23], v[78:79], -v[84:85]
	v_fma_f64 v[20:21], s[14:15], v[22:23], v[0:1]
	v_fmac_f64_e32 v[0:1], s[16:17], v[22:23]
	v_add_f64 v[22:23], v[2:3], v[78:79]
	v_add_f64 v[26:27], v[22:23], v[84:85]
	;; [unrolled: 1-line block ×3, first 2 shown]
	v_fmac_f64_e32 v[2:3], -0.5, v[22:23]
	v_add_f64 v[60:61], v[76:77], -v[82:83]
	v_fma_f64 v[22:23], s[16:17], v[60:61], v[2:3]
	v_fmac_f64_e32 v[2:3], s[14:15], v[60:61]
	v_accvgpr_read_b32 v60, a115
	s_barrier
	ds_write_b128 v60, v[36:39]
	ds_write_b128 v60, v[40:43] offset:2000
	ds_write_b128 v60, v[16:19] offset:4000
	v_accvgpr_read_b32 v16, a116
	ds_write_b128 v16, v[44:47]
	ds_write_b128 v16, v[48:51] offset:2000
	ds_write_b128 v16, v[8:11] offset:4000
	v_accvgpr_read_b32 v8, a117
	;; [unrolled: 4-line block ×4, first 2 shown]
	ds_write_b128 v4, v[24:27]
	ds_write_b128 v4, v[20:23] offset:2000
	ds_write_b128 v4, v[0:3] offset:4000
	s_waitcnt lgkmcnt(0)
	s_barrier
	ds_read_b128 v[16:19], v134
	ds_read_b128 v[20:23], v134 offset:18000
	ds_read_b128 v[24:27], v134 offset:36000
	;; [unrolled: 1-line block ×14, first 2 shown]
	s_waitcnt lgkmcnt(13)
	v_mul_f64 v[60:61], v[202:203], v[22:23]
	v_fmac_f64_e32 v[60:61], v[200:201], v[20:21]
	v_mul_f64 v[20:21], v[202:203], v[20:21]
	v_fma_f64 v[20:21], v[200:201], v[22:23], -v[20:21]
	s_waitcnt lgkmcnt(12)
	v_mul_f64 v[22:23], v[198:199], v[26:27]
	v_fmac_f64_e32 v[22:23], v[196:197], v[24:25]
	v_mul_f64 v[24:25], v[198:199], v[24:25]
	v_fma_f64 v[24:25], v[196:197], v[26:27], -v[24:25]
	s_waitcnt lgkmcnt(10)
	v_mul_f64 v[26:27], v[210:211], v[30:31]
	v_fmac_f64_e32 v[26:27], v[208:209], v[28:29]
	v_mul_f64 v[28:29], v[210:211], v[28:29]
	v_fma_f64 v[28:29], v[208:209], v[30:31], -v[28:29]
	s_waitcnt lgkmcnt(9)
	v_mul_f64 v[30:31], v[206:207], v[34:35]
	v_fmac_f64_e32 v[30:31], v[204:205], v[32:33]
	v_mul_f64 v[32:33], v[206:207], v[32:33]
	v_fma_f64 v[32:33], v[204:205], v[34:35], -v[32:33]
	s_waitcnt lgkmcnt(7)
	v_mul_f64 v[34:35], v[218:219], v[38:39]
	v_fmac_f64_e32 v[34:35], v[216:217], v[36:37]
	v_mul_f64 v[36:37], v[218:219], v[36:37]
	v_fma_f64 v[38:39], v[216:217], v[38:39], -v[36:37]
	s_waitcnt lgkmcnt(6)
	v_mul_f64 v[36:37], v[214:215], v[40:41]
	v_fma_f64 v[64:65], v[212:213], v[42:43], -v[36:37]
	s_waitcnt lgkmcnt(4)
	v_mul_f64 v[36:37], v[226:227], v[44:45]
	v_fma_f64 v[68:69], v[224:225], v[46:47], -v[36:37]
	;; [unrolled: 3-line block ×4, first 2 shown]
	s_waitcnt lgkmcnt(0)
	v_mul_f64 v[36:37], v[230:231], v[56:57]
	v_mul_f64 v[74:75], v[234:235], v[54:55]
	v_fma_f64 v[82:83], v[228:229], v[58:59], -v[36:37]
	v_add_f64 v[36:37], v[16:17], v[60:61]
	v_fmac_f64_e32 v[74:75], v[232:233], v[52:53]
	v_add_f64 v[52:53], v[36:37], v[22:23]
	v_add_f64 v[36:37], v[60:61], v[22:23]
	v_mul_f64 v[78:79], v[230:231], v[58:59]
	v_fmac_f64_e32 v[16:17], -0.5, v[36:37]
	v_add_f64 v[36:37], v[20:21], -v[24:25]
	v_fmac_f64_e32 v[78:79], v[228:229], v[56:57]
	v_fma_f64 v[56:57], s[14:15], v[36:37], v[16:17]
	v_fmac_f64_e32 v[16:17], s[16:17], v[36:37]
	v_add_f64 v[36:37], v[18:19], v[20:21]
	v_add_f64 v[20:21], v[20:21], v[24:25]
	v_fmac_f64_e32 v[18:19], -0.5, v[20:21]
	v_add_f64 v[20:21], v[60:61], -v[22:23]
	v_mul_f64 v[70:71], v[222:223], v[50:51]
	v_fma_f64 v[58:59], s[16:17], v[20:21], v[18:19]
	v_fmac_f64_e32 v[18:19], s[14:15], v[20:21]
	v_add_f64 v[20:21], v[4:5], v[26:27]
	v_fmac_f64_e32 v[70:71], v[220:221], v[48:49]
	v_add_f64 v[48:49], v[20:21], v[30:31]
	v_add_f64 v[20:21], v[26:27], v[30:31]
	v_mul_f64 v[66:67], v[226:227], v[46:47]
	v_fmac_f64_e32 v[4:5], -0.5, v[20:21]
	v_add_f64 v[20:21], v[28:29], -v[32:33]
	v_fmac_f64_e32 v[66:67], v[224:225], v[44:45]
	v_fma_f64 v[44:45], s[14:15], v[20:21], v[4:5]
	v_fmac_f64_e32 v[4:5], s[16:17], v[20:21]
	v_add_f64 v[20:21], v[6:7], v[28:29]
	v_add_f64 v[50:51], v[20:21], v[32:33]
	;; [unrolled: 1-line block ×3, first 2 shown]
	v_mul_f64 v[62:63], v[214:215], v[42:43]
	v_fmac_f64_e32 v[6:7], -0.5, v[20:21]
	v_add_f64 v[20:21], v[26:27], -v[30:31]
	v_fmac_f64_e32 v[62:63], v[212:213], v[40:41]
	v_fma_f64 v[46:47], s[16:17], v[20:21], v[6:7]
	v_fmac_f64_e32 v[6:7], s[14:15], v[20:21]
	v_add_f64 v[20:21], v[12:13], v[34:35]
	v_add_f64 v[40:41], v[20:21], v[62:63]
	;; [unrolled: 1-line block ×3, first 2 shown]
	v_fmac_f64_e32 v[12:13], -0.5, v[20:21]
	v_add_f64 v[20:21], v[38:39], -v[64:65]
	v_add_f64 v[54:55], v[36:37], v[24:25]
	v_fma_f64 v[36:37], s[14:15], v[20:21], v[12:13]
	v_fmac_f64_e32 v[12:13], s[16:17], v[20:21]
	v_add_f64 v[20:21], v[14:15], v[38:39]
	v_add_f64 v[42:43], v[20:21], v[64:65]
	v_add_f64 v[20:21], v[38:39], v[64:65]
	v_fmac_f64_e32 v[14:15], -0.5, v[20:21]
	v_add_f64 v[20:21], v[34:35], -v[62:63]
	v_fma_f64 v[38:39], s[16:17], v[20:21], v[14:15]
	v_fmac_f64_e32 v[14:15], s[14:15], v[20:21]
	v_add_f64 v[20:21], v[8:9], v[66:67]
	v_add_f64 v[32:33], v[20:21], v[70:71]
	v_add_f64 v[20:21], v[66:67], v[70:71]
	v_fmac_f64_e32 v[8:9], -0.5, v[20:21]
	v_add_f64 v[20:21], v[68:69], -v[72:73]
	;; [unrolled: 7-line block ×5, first 2 shown]
	s_barrier
	ds_write_b128 v134, v[52:55]
	ds_write_b128 v134, v[56:59] offset:6000
	ds_write_b128 v134, v[16:19] offset:12000
	v_accvgpr_read_b32 v16, a120
	v_fma_f64 v[22:23], s[16:17], v[60:61], v[2:3]
	v_fmac_f64_e32 v[2:3], s[14:15], v[60:61]
	ds_write_b128 v16, v[48:51]
	ds_write_b128 v16, v[44:47] offset:6000
	ds_write_b128 v16, v[4:7] offset:12000
	;; [unrolled: 1-line block ×5, first 2 shown]
	v_accvgpr_read_b32 v4, a121
	ds_write_b128 v4, v[32:35]
	ds_write_b128 v4, v[28:31] offset:6000
	ds_write_b128 v4, v[8:11] offset:12000
	;; [unrolled: 1-line block ×5, first 2 shown]
	s_waitcnt lgkmcnt(0)
	s_barrier
	ds_read_b128 v[4:7], v134
	ds_read_b128 v[20:23], v134 offset:18000
	ds_read_b128 v[24:27], v134 offset:36000
	ds_read_b128 v[0:3], v134 offset:3600
	ds_read_b128 v[28:31], v134 offset:21600
	ds_read_b128 v[32:35], v134 offset:39600
	ds_read_b128 v[12:15], v134 offset:7200
	ds_read_b128 v[36:39], v134 offset:25200
	ds_read_b128 v[40:43], v134 offset:43200
	ds_read_b128 v[8:11], v134 offset:10800
	ds_read_b128 v[44:47], v134 offset:28800
	ds_read_b128 v[48:51], v134 offset:46800
	ds_read_b128 v[16:19], v134 offset:14400
	ds_read_b128 v[52:55], v134 offset:32400
	ds_read_b128 v[56:59], v134 offset:50400
	s_waitcnt lgkmcnt(13)
	v_mul_f64 v[60:61], v[242:243], v[22:23]
	v_fmac_f64_e32 v[60:61], v[240:241], v[20:21]
	v_mul_f64 v[20:21], v[242:243], v[20:21]
	v_fma_f64 v[62:63], v[240:241], v[22:23], -v[20:21]
	s_waitcnt lgkmcnt(12)
	v_mul_f64 v[20:21], v[238:239], v[24:25]
	v_mul_f64 v[64:65], v[238:239], v[26:27]
	v_fma_f64 v[26:27], v[236:237], v[26:27], -v[20:21]
	s_waitcnt lgkmcnt(10)
	v_mul_f64 v[20:21], v[250:251], v[28:29]
	v_fma_f64 v[68:69], v[248:249], v[30:31], -v[20:21]
	s_waitcnt lgkmcnt(9)
	v_mul_f64 v[20:21], v[246:247], v[32:33]
	v_mul_f64 v[70:71], v[246:247], v[34:35]
	v_fma_f64 v[34:35], v[244:245], v[34:35], -v[20:21]
	s_waitcnt lgkmcnt(7)
	;; [unrolled: 7-line block ×3, first 2 shown]
	v_mul_f64 v[20:21], v[118:119], v[44:45]
	v_fma_f64 v[82:83], v[116:117], v[46:47], -v[20:21]
	s_waitcnt lgkmcnt(3)
	v_mul_f64 v[20:21], v[122:123], v[48:49]
	v_fmac_f64_e32 v[64:65], v[236:237], v[24:25]
	v_mul_f64 v[84:85], v[122:123], v[50:51]
	v_fma_f64 v[50:51], v[120:121], v[50:51], -v[20:21]
	s_waitcnt lgkmcnt(1)
	v_mul_f64 v[20:21], v[94:95], v[52:53]
	v_fma_f64 v[88:89], v[92:93], v[54:55], -v[20:21]
	s_waitcnt lgkmcnt(0)
	v_mul_f64 v[20:21], v[110:111], v[56:57]
	v_add_f64 v[22:23], v[60:61], v[64:65]
	v_mul_f64 v[90:91], v[110:111], v[58:59]
	v_fma_f64 v[58:59], v[108:109], v[58:59], -v[20:21]
	v_add_f64 v[20:21], v[4:5], v[60:61]
	v_fmac_f64_e32 v[4:5], -0.5, v[22:23]
	v_add_f64 v[22:23], v[62:63], -v[26:27]
	v_mul_f64 v[66:67], v[250:251], v[30:31]
	v_fma_f64 v[24:25], s[14:15], v[22:23], v[4:5]
	v_fmac_f64_e32 v[4:5], s[16:17], v[22:23]
	v_add_f64 v[22:23], v[6:7], v[62:63]
	v_fmac_f64_e32 v[66:67], v[248:249], v[28:29]
	v_fmac_f64_e32 v[70:71], v[244:245], v[32:33]
	v_add_f64 v[22:23], v[22:23], v[26:27]
	v_add_f64 v[26:27], v[62:63], v[26:27]
	v_fmac_f64_e32 v[6:7], -0.5, v[26:27]
	v_add_f64 v[28:29], v[60:61], -v[64:65]
	v_add_f64 v[30:31], v[66:67], v[70:71]
	v_fma_f64 v[26:27], s[16:17], v[28:29], v[6:7]
	v_fmac_f64_e32 v[6:7], s[14:15], v[28:29]
	v_add_f64 v[28:29], v[0:1], v[66:67]
	v_fmac_f64_e32 v[0:1], -0.5, v[30:31]
	v_add_f64 v[30:31], v[68:69], -v[34:35]
	v_mul_f64 v[72:73], v[132:133], v[38:39]
	v_fma_f64 v[32:33], s[14:15], v[30:31], v[0:1]
	v_fmac_f64_e32 v[0:1], s[16:17], v[30:31]
	v_add_f64 v[30:31], v[2:3], v[68:69]
	v_fmac_f64_e32 v[72:73], v[130:131], v[36:37]
	v_fmac_f64_e32 v[76:77], v[252:253], v[40:41]
	v_add_f64 v[30:31], v[30:31], v[34:35]
	v_add_f64 v[34:35], v[68:69], v[34:35]
	v_fmac_f64_e32 v[2:3], -0.5, v[34:35]
	v_add_f64 v[36:37], v[66:67], -v[70:71]
	v_add_f64 v[38:39], v[72:73], v[76:77]
	v_fma_f64 v[34:35], s[16:17], v[36:37], v[2:3]
	v_fmac_f64_e32 v[2:3], s[14:15], v[36:37]
	;; [unrolled: 16-line block ×4, first 2 shown]
	v_add_f64 v[52:53], v[16:17], v[86:87]
	v_fmac_f64_e32 v[16:17], -0.5, v[54:55]
	v_add_f64 v[54:55], v[88:89], -v[58:59]
	v_fma_f64 v[56:57], s[14:15], v[54:55], v[16:17]
	v_fmac_f64_e32 v[16:17], s[16:17], v[54:55]
	v_add_f64 v[54:55], v[18:19], v[88:89]
	v_add_f64 v[54:55], v[54:55], v[58:59]
	;; [unrolled: 1-line block ×4, first 2 shown]
	v_fmac_f64_e32 v[18:19], -0.5, v[58:59]
	v_add_f64 v[60:61], v[86:87], -v[90:91]
	v_add_f64 v[28:29], v[28:29], v[70:71]
	v_add_f64 v[36:37], v[36:37], v[76:77]
	v_add_f64 v[44:45], v[44:45], v[84:85]
	v_add_f64 v[52:53], v[52:53], v[90:91]
	v_fma_f64 v[58:59], s[16:17], v[60:61], v[18:19]
	v_fmac_f64_e32 v[18:19], s[14:15], v[60:61]
	ds_write_b128 v134, v[20:23]
	ds_write_b128 v134, v[24:27] offset:18000
	ds_write_b128 v134, v[4:7] offset:36000
	;; [unrolled: 1-line block ×14, first 2 shown]
	s_waitcnt lgkmcnt(0)
	s_barrier
	ds_read_b128 v[0:3], v134
	v_accvgpr_read_b32 v6, a8
	v_accvgpr_read_b32 v8, a10
	;; [unrolled: 1-line block ×4, first 2 shown]
	s_waitcnt lgkmcnt(0)
	v_mul_f64 v[4:5], v[8:9], v[2:3]
	v_fmac_f64_e32 v[4:5], v[6:7], v[0:1]
	s_mov_b32 s2, 0xe70b7421
	v_mul_f64 v[0:1], v[8:9], v[0:1]
	s_mov_b32 s3, 0x3f336b06
	v_fma_f64 v[0:1], v[6:7], v[2:3], -v[0:1]
	v_mul_f64 v[6:7], v[0:1], s[2:3]
	v_mad_u64_u32 v[0:1], s[4:5], s0, v80, 0
	v_mov_b32_e32 v2, v1
	v_mad_u64_u32 v[2:3], s[4:5], s1, v80, v[2:3]
	v_mov_b32_e32 v1, v2
	v_accvgpr_read_b32 v3, a1
	v_accvgpr_read_b32 v9, a3
	;; [unrolled: 1-line block ×4, first 2 shown]
	v_lshl_add_u64 v[2:3], v[8:9], 4, v[2:3]
	v_lshl_add_u64 v[8:9], v[0:1], 4, v[2:3]
	ds_read_b128 v[0:3], v134 offset:10800
	v_accvgpr_read_b32 v10, a12
	v_mul_f64 v[4:5], v[4:5], s[2:3]
	v_accvgpr_read_b32 v12, a14
	v_accvgpr_read_b32 v13, a15
	global_store_dwordx4 v[8:9], v[4:7], off
	v_accvgpr_read_b32 v11, a13
	s_waitcnt lgkmcnt(0)
	v_mul_f64 v[4:5], v[12:13], v[2:3]
	v_fmac_f64_e32 v[4:5], v[10:11], v[0:1]
	v_mul_f64 v[0:1], v[12:13], v[0:1]
	v_fma_f64 v[0:1], v[10:11], v[2:3], -v[0:1]
	v_mul_f64 v[6:7], v[0:1], s[2:3]
	ds_read_b128 v[0:3], v134 offset:21600
	v_mov_b32_e32 v10, 0x2a30
	v_mad_u64_u32 v[8:9], s[4:5], s0, v10, v[8:9]
	s_mul_i32 s4, s1, 0x2a30
	v_accvgpr_read_b32 v12, a16
	v_mul_f64 v[4:5], v[4:5], s[2:3]
	v_add_u32_e32 v9, s4, v9
	v_accvgpr_read_b32 v14, a18
	v_accvgpr_read_b32 v15, a19
	global_store_dwordx4 v[8:9], v[4:7], off
	v_accvgpr_read_b32 v13, a17
	v_mad_u64_u32 v[8:9], s[6:7], s0, v10, v[8:9]
	s_waitcnt lgkmcnt(0)
	v_mul_f64 v[4:5], v[14:15], v[2:3]
	v_fmac_f64_e32 v[4:5], v[12:13], v[0:1]
	v_mul_f64 v[0:1], v[14:15], v[0:1]
	v_fma_f64 v[0:1], v[12:13], v[2:3], -v[0:1]
	v_mul_f64 v[6:7], v[0:1], s[2:3]
	ds_read_b128 v[0:3], v134 offset:32400
	v_accvgpr_read_b32 v12, a20
	v_mul_f64 v[4:5], v[4:5], s[2:3]
	v_add_u32_e32 v9, s4, v9
	v_accvgpr_read_b32 v14, a22
	v_accvgpr_read_b32 v15, a23
	global_store_dwordx4 v[8:9], v[4:7], off
	v_accvgpr_read_b32 v13, a21
	v_mad_u64_u32 v[8:9], s[6:7], s0, v10, v[8:9]
	s_waitcnt lgkmcnt(0)
	v_mul_f64 v[4:5], v[14:15], v[2:3]
	v_fmac_f64_e32 v[4:5], v[12:13], v[0:1]
	v_mul_f64 v[0:1], v[14:15], v[0:1]
	v_fma_f64 v[0:1], v[12:13], v[2:3], -v[0:1]
	v_mul_f64 v[6:7], v[0:1], s[2:3]
	ds_read_b128 v[0:3], v134 offset:43200
	;; [unrolled: 15-line block ×3, first 2 shown]
	v_accvgpr_read_b32 v14, a28
	v_mul_f64 v[4:5], v[4:5], s[2:3]
	v_add_u32_e32 v9, s4, v9
	v_accvgpr_read_b32 v16, a30
	v_accvgpr_read_b32 v17, a31
	global_store_dwordx4 v[8:9], v[4:7], off
	v_accvgpr_read_b32 v15, a29
	v_mov_b32_e32 v10, 0xffff6550
	s_waitcnt lgkmcnt(0)
	v_mul_f64 v[4:5], v[16:17], v[2:3]
	v_fmac_f64_e32 v[4:5], v[14:15], v[0:1]
	v_mul_f64 v[0:1], v[16:17], v[0:1]
	v_fma_f64 v[0:1], v[14:15], v[2:3], -v[0:1]
	v_mul_f64 v[6:7], v[0:1], s[2:3]
	ds_read_b128 v[0:3], v134 offset:14400
	s_mul_i32 s1, s1, 0xffff6550
	v_mad_u64_u32 v[8:9], s[6:7], s0, v10, v[8:9]
	s_sub_i32 s1, s1, s0
	v_accvgpr_read_b32 v14, a32
	v_mul_f64 v[4:5], v[4:5], s[2:3]
	v_add_u32_e32 v9, s1, v9
	v_accvgpr_read_b32 v16, a34
	v_accvgpr_read_b32 v17, a35
	global_store_dwordx4 v[8:9], v[4:7], off
	v_accvgpr_read_b32 v15, a33
	v_mov_b32_e32 v12, 0x2a30
	s_waitcnt lgkmcnt(0)
	v_mul_f64 v[4:5], v[16:17], v[2:3]
	v_fmac_f64_e32 v[4:5], v[14:15], v[0:1]
	v_mul_f64 v[0:1], v[16:17], v[0:1]
	v_fma_f64 v[0:1], v[14:15], v[2:3], -v[0:1]
	v_mul_f64 v[6:7], v[0:1], s[2:3]
	ds_read_b128 v[0:3], v134 offset:25200
	v_mad_u64_u32 v[8:9], s[6:7], s0, v12, v[8:9]
	v_accvgpr_read_b32 v14, a36
	v_mul_f64 v[4:5], v[4:5], s[2:3]
	v_add_u32_e32 v9, s4, v9
	v_accvgpr_read_b32 v16, a38
	v_accvgpr_read_b32 v17, a39
	global_store_dwordx4 v[8:9], v[4:7], off
	v_accvgpr_read_b32 v15, a37
	v_mad_u64_u32 v[8:9], s[6:7], s0, v12, v[8:9]
	s_waitcnt lgkmcnt(0)
	v_mul_f64 v[4:5], v[16:17], v[2:3]
	v_fmac_f64_e32 v[4:5], v[14:15], v[0:1]
	v_mul_f64 v[0:1], v[16:17], v[0:1]
	v_fma_f64 v[0:1], v[14:15], v[2:3], -v[0:1]
	v_mul_f64 v[6:7], v[0:1], s[2:3]
	ds_read_b128 v[0:3], v134 offset:36000
	v_accvgpr_read_b32 v14, a40
	v_mul_f64 v[4:5], v[4:5], s[2:3]
	v_add_u32_e32 v9, s4, v9
	v_accvgpr_read_b32 v16, a42
	v_accvgpr_read_b32 v17, a43
	global_store_dwordx4 v[8:9], v[4:7], off
	v_accvgpr_read_b32 v15, a41
	v_mad_u64_u32 v[8:9], s[6:7], s0, v12, v[8:9]
	s_waitcnt lgkmcnt(0)
	v_mul_f64 v[4:5], v[16:17], v[2:3]
	v_fmac_f64_e32 v[4:5], v[14:15], v[0:1]
	v_mul_f64 v[0:1], v[16:17], v[0:1]
	v_fma_f64 v[0:1], v[14:15], v[2:3], -v[0:1]
	v_mul_f64 v[6:7], v[0:1], s[2:3]
	ds_read_b128 v[0:3], v134 offset:46800
	;; [unrolled: 15-line block ×6, first 2 shown]
	v_accvgpr_read_b32 v14, a60
	v_mul_f64 v[4:5], v[4:5], s[2:3]
	v_add_u32_e32 v11, s4, v11
	v_accvgpr_read_b32 v16, a62
	v_accvgpr_read_b32 v17, a63
	global_store_dwordx4 v[10:11], v[4:7], off
	v_accvgpr_read_b32 v15, a61
	s_waitcnt lgkmcnt(0)
	v_mul_f64 v[4:5], v[16:17], v[2:3]
	v_fmac_f64_e32 v[4:5], v[14:15], v[0:1]
	v_mul_f64 v[0:1], v[16:17], v[0:1]
	v_fma_f64 v[0:1], v[14:15], v[2:3], -v[0:1]
	v_mul_f64 v[8:9], v[0:1], s[2:3]
	ds_read_b128 v[0:3], v134 offset:50400
	v_mul_f64 v[6:7], v[4:5], s[2:3]
	v_mad_u64_u32 v[4:5], s[6:7], s0, v12, v[10:11]
	v_add_u32_e32 v5, s4, v5
	global_store_dwordx4 v[4:5], v[6:9], off
	v_accvgpr_read_b32 v11, a7
	v_accvgpr_read_b32 v10, a6
	v_accvgpr_read_b32 v9, a5
	v_accvgpr_read_b32 v8, a4
	s_waitcnt lgkmcnt(0)
	v_mul_f64 v[6:7], v[10:11], v[2:3]
	v_fmac_f64_e32 v[6:7], v[8:9], v[0:1]
	v_mul_f64 v[0:1], v[10:11], v[0:1]
	v_fma_f64 v[0:1], v[8:9], v[2:3], -v[0:1]
	v_mul_f64 v[8:9], v[0:1], s[2:3]
	v_mad_u64_u32 v[0:1], s[0:1], s0, v12, v[4:5]
	v_mul_f64 v[6:7], v[6:7], s[2:3]
	v_add_u32_e32 v1, s4, v1
	global_store_dwordx4 v[0:1], v[6:9], off
.LBB0_2:
	s_endpgm
	.section	.rodata,"a",@progbits
	.p2align	6, 0x0
	.amdhsa_kernel bluestein_single_back_len3375_dim1_dp_op_CI_CI
		.amdhsa_group_segment_fixed_size 54000
		.amdhsa_private_segment_fixed_size 0
		.amdhsa_kernarg_size 104
		.amdhsa_user_sgpr_count 2
		.amdhsa_user_sgpr_dispatch_ptr 0
		.amdhsa_user_sgpr_queue_ptr 0
		.amdhsa_user_sgpr_kernarg_segment_ptr 1
		.amdhsa_user_sgpr_dispatch_id 0
		.amdhsa_user_sgpr_kernarg_preload_length 0
		.amdhsa_user_sgpr_kernarg_preload_offset 0
		.amdhsa_user_sgpr_private_segment_size 0
		.amdhsa_uses_dynamic_stack 0
		.amdhsa_enable_private_segment 0
		.amdhsa_system_sgpr_workgroup_id_x 1
		.amdhsa_system_sgpr_workgroup_id_y 0
		.amdhsa_system_sgpr_workgroup_id_z 0
		.amdhsa_system_sgpr_workgroup_info 0
		.amdhsa_system_vgpr_workitem_id 0
		.amdhsa_next_free_vgpr 378
		.amdhsa_next_free_sgpr 26
		.amdhsa_accum_offset 256
		.amdhsa_reserve_vcc 1
		.amdhsa_float_round_mode_32 0
		.amdhsa_float_round_mode_16_64 0
		.amdhsa_float_denorm_mode_32 3
		.amdhsa_float_denorm_mode_16_64 3
		.amdhsa_dx10_clamp 1
		.amdhsa_ieee_mode 1
		.amdhsa_fp16_overflow 0
		.amdhsa_tg_split 0
		.amdhsa_exception_fp_ieee_invalid_op 0
		.amdhsa_exception_fp_denorm_src 0
		.amdhsa_exception_fp_ieee_div_zero 0
		.amdhsa_exception_fp_ieee_overflow 0
		.amdhsa_exception_fp_ieee_underflow 0
		.amdhsa_exception_fp_ieee_inexact 0
		.amdhsa_exception_int_div_zero 0
	.end_amdhsa_kernel
	.text
.Lfunc_end0:
	.size	bluestein_single_back_len3375_dim1_dp_op_CI_CI, .Lfunc_end0-bluestein_single_back_len3375_dim1_dp_op_CI_CI
                                        ; -- End function
	.section	.AMDGPU.csdata,"",@progbits
; Kernel info:
; codeLenInByte = 23628
; NumSgprs: 32
; NumVgprs: 256
; NumAgprs: 122
; TotalNumVgprs: 378
; ScratchSize: 0
; MemoryBound: 0
; FloatMode: 240
; IeeeMode: 1
; LDSByteSize: 54000 bytes/workgroup (compile time only)
; SGPRBlocks: 3
; VGPRBlocks: 47
; NumSGPRsForWavesPerEU: 32
; NumVGPRsForWavesPerEU: 378
; AccumOffset: 256
; Occupancy: 1
; WaveLimiterHint : 1
; COMPUTE_PGM_RSRC2:SCRATCH_EN: 0
; COMPUTE_PGM_RSRC2:USER_SGPR: 2
; COMPUTE_PGM_RSRC2:TRAP_HANDLER: 0
; COMPUTE_PGM_RSRC2:TGID_X_EN: 1
; COMPUTE_PGM_RSRC2:TGID_Y_EN: 0
; COMPUTE_PGM_RSRC2:TGID_Z_EN: 0
; COMPUTE_PGM_RSRC2:TIDIG_COMP_CNT: 0
; COMPUTE_PGM_RSRC3_GFX90A:ACCUM_OFFSET: 63
; COMPUTE_PGM_RSRC3_GFX90A:TG_SPLIT: 0
	.text
	.p2alignl 6, 3212836864
	.fill 256, 4, 3212836864
	.type	__hip_cuid_dbb54694d029333,@object ; @__hip_cuid_dbb54694d029333
	.section	.bss,"aw",@nobits
	.globl	__hip_cuid_dbb54694d029333
__hip_cuid_dbb54694d029333:
	.byte	0                               ; 0x0
	.size	__hip_cuid_dbb54694d029333, 1

	.ident	"AMD clang version 19.0.0git (https://github.com/RadeonOpenCompute/llvm-project roc-6.4.0 25133 c7fe45cf4b819c5991fe208aaa96edf142730f1d)"
	.section	".note.GNU-stack","",@progbits
	.addrsig
	.addrsig_sym __hip_cuid_dbb54694d029333
	.amdgpu_metadata
---
amdhsa.kernels:
  - .agpr_count:     122
    .args:
      - .actual_access:  read_only
        .address_space:  global
        .offset:         0
        .size:           8
        .value_kind:     global_buffer
      - .actual_access:  read_only
        .address_space:  global
        .offset:         8
        .size:           8
        .value_kind:     global_buffer
      - .actual_access:  read_only
        .address_space:  global
        .offset:         16
        .size:           8
        .value_kind:     global_buffer
      - .actual_access:  read_only
        .address_space:  global
        .offset:         24
        .size:           8
        .value_kind:     global_buffer
      - .actual_access:  read_only
        .address_space:  global
        .offset:         32
        .size:           8
        .value_kind:     global_buffer
      - .offset:         40
        .size:           8
        .value_kind:     by_value
      - .address_space:  global
        .offset:         48
        .size:           8
        .value_kind:     global_buffer
      - .address_space:  global
        .offset:         56
        .size:           8
        .value_kind:     global_buffer
      - .address_space:  global
        .offset:         64
        .size:           8
        .value_kind:     global_buffer
      - .address_space:  global
        .offset:         72
        .size:           8
        .value_kind:     global_buffer
      - .offset:         80
        .size:           4
        .value_kind:     by_value
      - .address_space:  global
        .offset:         88
        .size:           8
        .value_kind:     global_buffer
      - .address_space:  global
        .offset:         96
        .size:           8
        .value_kind:     global_buffer
    .group_segment_fixed_size: 54000
    .kernarg_segment_align: 8
    .kernarg_segment_size: 104
    .language:       OpenCL C
    .language_version:
      - 2
      - 0
    .max_flat_workgroup_size: 225
    .name:           bluestein_single_back_len3375_dim1_dp_op_CI_CI
    .private_segment_fixed_size: 0
    .sgpr_count:     32
    .sgpr_spill_count: 0
    .symbol:         bluestein_single_back_len3375_dim1_dp_op_CI_CI.kd
    .uniform_work_group_size: 1
    .uses_dynamic_stack: false
    .vgpr_count:     378
    .vgpr_spill_count: 0
    .wavefront_size: 64
amdhsa.target:   amdgcn-amd-amdhsa--gfx950
amdhsa.version:
  - 1
  - 2
...

	.end_amdgpu_metadata
